;; amdgpu-corpus repo=ROCm/composable_kernel kind=compiled arch=gfx906 opt=O3
	.amdgcn_target "amdgcn-amd-amdhsa--gfx906"
	.amdhsa_code_object_version 6
	.section	.text._ZN2ckL12flush_icacheEv,"axG",@progbits,_ZN2ckL12flush_icacheEv,comdat
	.globl	_ZN2ckL12flush_icacheEv         ; -- Begin function _ZN2ckL12flush_icacheEv
	.p2align	8
	.type	_ZN2ckL12flush_icacheEv,@function
_ZN2ckL12flush_icacheEv:                ; @_ZN2ckL12flush_icacheEv
; %bb.0:
	;;#ASMSTART
	s_icache_inv 
	s_nop 0 
	s_nop 0 
	;; [unrolled: 1-line block ×16, first 2 shown]
	
	;;#ASMEND
	s_endpgm
	.section	.rodata,"a",@progbits
	.p2align	6, 0x0
	.amdhsa_kernel _ZN2ckL12flush_icacheEv
		.amdhsa_group_segment_fixed_size 0
		.amdhsa_private_segment_fixed_size 0
		.amdhsa_kernarg_size 0
		.amdhsa_user_sgpr_count 4
		.amdhsa_user_sgpr_private_segment_buffer 1
		.amdhsa_user_sgpr_dispatch_ptr 0
		.amdhsa_user_sgpr_queue_ptr 0
		.amdhsa_user_sgpr_kernarg_segment_ptr 0
		.amdhsa_user_sgpr_dispatch_id 0
		.amdhsa_user_sgpr_flat_scratch_init 0
		.amdhsa_user_sgpr_private_segment_size 0
		.amdhsa_uses_dynamic_stack 0
		.amdhsa_system_sgpr_private_segment_wavefront_offset 0
		.amdhsa_system_sgpr_workgroup_id_x 1
		.amdhsa_system_sgpr_workgroup_id_y 0
		.amdhsa_system_sgpr_workgroup_id_z 0
		.amdhsa_system_sgpr_workgroup_info 0
		.amdhsa_system_vgpr_workitem_id 0
		.amdhsa_next_free_vgpr 1
		.amdhsa_next_free_sgpr 0
		.amdhsa_reserve_vcc 0
		.amdhsa_reserve_flat_scratch 0
		.amdhsa_float_round_mode_32 0
		.amdhsa_float_round_mode_16_64 0
		.amdhsa_float_denorm_mode_32 3
		.amdhsa_float_denorm_mode_16_64 3
		.amdhsa_dx10_clamp 1
		.amdhsa_ieee_mode 1
		.amdhsa_fp16_overflow 0
		.amdhsa_exception_fp_ieee_invalid_op 0
		.amdhsa_exception_fp_denorm_src 0
		.amdhsa_exception_fp_ieee_div_zero 0
		.amdhsa_exception_fp_ieee_overflow 0
		.amdhsa_exception_fp_ieee_underflow 0
		.amdhsa_exception_fp_ieee_inexact 0
		.amdhsa_exception_int_div_zero 0
	.end_amdhsa_kernel
	.section	.text._ZN2ckL12flush_icacheEv,"axG",@progbits,_ZN2ckL12flush_icacheEv,comdat
.Lfunc_end0:
	.size	_ZN2ckL12flush_icacheEv, .Lfunc_end0-_ZN2ckL12flush_icacheEv
                                        ; -- End function
	.set _ZN2ckL12flush_icacheEv.num_vgpr, 0
	.set _ZN2ckL12flush_icacheEv.num_agpr, 0
	.set _ZN2ckL12flush_icacheEv.numbered_sgpr, 0
	.set _ZN2ckL12flush_icacheEv.num_named_barrier, 0
	.set _ZN2ckL12flush_icacheEv.private_seg_size, 0
	.set _ZN2ckL12flush_icacheEv.uses_vcc, 0
	.set _ZN2ckL12flush_icacheEv.uses_flat_scratch, 0
	.set _ZN2ckL12flush_icacheEv.has_dyn_sized_stack, 0
	.set _ZN2ckL12flush_icacheEv.has_recursion, 0
	.set _ZN2ckL12flush_icacheEv.has_indirect_call, 0
	.section	.AMDGPU.csdata,"",@progbits
; Kernel info:
; codeLenInByte = 140
; TotalNumSgprs: 4
; NumVgprs: 0
; ScratchSize: 0
; MemoryBound: 0
; FloatMode: 240
; IeeeMode: 1
; LDSByteSize: 0 bytes/workgroup (compile time only)
; SGPRBlocks: 0
; VGPRBlocks: 0
; NumSGPRsForWavesPerEU: 4
; NumVGPRsForWavesPerEU: 1
; Occupancy: 10
; WaveLimiterHint : 0
; COMPUTE_PGM_RSRC2:SCRATCH_EN: 0
; COMPUTE_PGM_RSRC2:USER_SGPR: 4
; COMPUTE_PGM_RSRC2:TRAP_HANDLER: 0
; COMPUTE_PGM_RSRC2:TGID_X_EN: 1
; COMPUTE_PGM_RSRC2:TGID_Y_EN: 0
; COMPUTE_PGM_RSRC2:TGID_Z_EN: 0
; COMPUTE_PGM_RSRC2:TIDIG_COMP_CNT: 0
	.section	.text._ZN2ck37kernel_gemm_xdl_waveletmodel_cshuffleINS_53GridwiseGemm_k0mk1_k0nk1_mn_xdl_waveletmodel_cshuffleIDF16_fDF16_DF16_NS_16tensor_operation12element_wise11PassThroughES4_S4_LNS_25InMemoryDataOperationEnumE0ENS_16TensorDescriptorINS_5TupleIJNS_5EmbedINS7_IJiiEEENS7_IJiNS_17integral_constantIiLi1EEEEEELb0EEENS_11PassThroughIiEESF_EEENS7_IJNS_8SequenceIJLi0EEEENSH_IJLi1EEEENSH_IJLi2EEEEEEENS7_IJNSH_IJLi1ELi2EEEENSH_IJLi3EEEENSH_IJLi4EEEEEEENSH_IJLi3ELi4EEEElEESR_SR_Li1ELi256ELi256ELi256ELi128ELi32ELi8ELi8ELi16ELi16ELi8ELi4ENSH_IJLi4ELi64ELi1EEEENSH_IJLi1ELi0ELi2EEEEST_Li2ELi8ELi8ELb0ELi1ESS_ST_ST_Li2ELi8ELi8ELb0ELi1ELi1ELi1ENSH_IJLi1ELi32ELi1ELi8EEEELi4EEEDF16_DF16_S4_S4_S4_NS6_INS7_IJSD_SF_SF_NS_7UnMergeINS7_IJiNSA_IiLi8EEEEEELb0EEESF_EEENS7_IJSI_SJ_SK_SO_SN_EEENS7_IJSM_SN_SO_NSH_IJLi5ELi6EEEENSH_IJLi7EEEEEEENSH_IJLi5ELi7ELi6EEEElEES16_NS6_INS7_IJSD_SF_SF_NSW_INS7_IJiNSA_IiLi256EEEEEELb0EEENSW_INS7_IJiNSA_IiLi128EEEEEELb0EEEEEENS7_IJSI_SJ_SK_SN_SO_EEENS7_IJSM_SN_SO_S12_NSH_IJLi7ELi8EEEEEEENSH_IJLi5ELi6ELi7ELi8EEEElEENS_13TensorAdaptorINS7_IJNSW_ISC_Lb0EEES1K_NS_23Merge_v2_magic_divisionINS7_IJiiSB_SB_EEEEEEEENS7_IJSI_SJ_NSH_IJLi2ELi3ELi4ELi5EEEEEEENS7_IJNSH_IJLi2ELi4EEEENSH_IJLi3ELi5EEEENSH_IJLi6EEEEEEENSH_IJLi0ELi1EEEES1T_EELb1EEEvPKT0_S1Z_PT1_T2_T3_T4_T5_T6_T7_T8_,"axG",@progbits,_ZN2ck37kernel_gemm_xdl_waveletmodel_cshuffleINS_53GridwiseGemm_k0mk1_k0nk1_mn_xdl_waveletmodel_cshuffleIDF16_fDF16_DF16_NS_16tensor_operation12element_wise11PassThroughES4_S4_LNS_25InMemoryDataOperationEnumE0ENS_16TensorDescriptorINS_5TupleIJNS_5EmbedINS7_IJiiEEENS7_IJiNS_17integral_constantIiLi1EEEEEELb0EEENS_11PassThroughIiEESF_EEENS7_IJNS_8SequenceIJLi0EEEENSH_IJLi1EEEENSH_IJLi2EEEEEEENS7_IJNSH_IJLi1ELi2EEEENSH_IJLi3EEEENSH_IJLi4EEEEEEENSH_IJLi3ELi4EEEElEESR_SR_Li1ELi256ELi256ELi256ELi128ELi32ELi8ELi8ELi16ELi16ELi8ELi4ENSH_IJLi4ELi64ELi1EEEENSH_IJLi1ELi0ELi2EEEEST_Li2ELi8ELi8ELb0ELi1ESS_ST_ST_Li2ELi8ELi8ELb0ELi1ELi1ELi1ENSH_IJLi1ELi32ELi1ELi8EEEELi4EEEDF16_DF16_S4_S4_S4_NS6_INS7_IJSD_SF_SF_NS_7UnMergeINS7_IJiNSA_IiLi8EEEEEELb0EEESF_EEENS7_IJSI_SJ_SK_SO_SN_EEENS7_IJSM_SN_SO_NSH_IJLi5ELi6EEEENSH_IJLi7EEEEEEENSH_IJLi5ELi7ELi6EEEElEES16_NS6_INS7_IJSD_SF_SF_NSW_INS7_IJiNSA_IiLi256EEEEEELb0EEENSW_INS7_IJiNSA_IiLi128EEEEEELb0EEEEEENS7_IJSI_SJ_SK_SN_SO_EEENS7_IJSM_SN_SO_S12_NSH_IJLi7ELi8EEEEEEENSH_IJLi5ELi6ELi7ELi8EEEElEENS_13TensorAdaptorINS7_IJNSW_ISC_Lb0EEES1K_NS_23Merge_v2_magic_divisionINS7_IJiiSB_SB_EEEEEEEENS7_IJSI_SJ_NSH_IJLi2ELi3ELi4ELi5EEEEEEENS7_IJNSH_IJLi2ELi4EEEENSH_IJLi3ELi5EEEENSH_IJLi6EEEEEEENSH_IJLi0ELi1EEEES1T_EELb1EEEvPKT0_S1Z_PT1_T2_T3_T4_T5_T6_T7_T8_,comdat
	.protected	_ZN2ck37kernel_gemm_xdl_waveletmodel_cshuffleINS_53GridwiseGemm_k0mk1_k0nk1_mn_xdl_waveletmodel_cshuffleIDF16_fDF16_DF16_NS_16tensor_operation12element_wise11PassThroughES4_S4_LNS_25InMemoryDataOperationEnumE0ENS_16TensorDescriptorINS_5TupleIJNS_5EmbedINS7_IJiiEEENS7_IJiNS_17integral_constantIiLi1EEEEEELb0EEENS_11PassThroughIiEESF_EEENS7_IJNS_8SequenceIJLi0EEEENSH_IJLi1EEEENSH_IJLi2EEEEEEENS7_IJNSH_IJLi1ELi2EEEENSH_IJLi3EEEENSH_IJLi4EEEEEEENSH_IJLi3ELi4EEEElEESR_SR_Li1ELi256ELi256ELi256ELi128ELi32ELi8ELi8ELi16ELi16ELi8ELi4ENSH_IJLi4ELi64ELi1EEEENSH_IJLi1ELi0ELi2EEEEST_Li2ELi8ELi8ELb0ELi1ESS_ST_ST_Li2ELi8ELi8ELb0ELi1ELi1ELi1ENSH_IJLi1ELi32ELi1ELi8EEEELi4EEEDF16_DF16_S4_S4_S4_NS6_INS7_IJSD_SF_SF_NS_7UnMergeINS7_IJiNSA_IiLi8EEEEEELb0EEESF_EEENS7_IJSI_SJ_SK_SO_SN_EEENS7_IJSM_SN_SO_NSH_IJLi5ELi6EEEENSH_IJLi7EEEEEEENSH_IJLi5ELi7ELi6EEEElEES16_NS6_INS7_IJSD_SF_SF_NSW_INS7_IJiNSA_IiLi256EEEEEELb0EEENSW_INS7_IJiNSA_IiLi128EEEEEELb0EEEEEENS7_IJSI_SJ_SK_SN_SO_EEENS7_IJSM_SN_SO_S12_NSH_IJLi7ELi8EEEEEEENSH_IJLi5ELi6ELi7ELi8EEEElEENS_13TensorAdaptorINS7_IJNSW_ISC_Lb0EEES1K_NS_23Merge_v2_magic_divisionINS7_IJiiSB_SB_EEEEEEEENS7_IJSI_SJ_NSH_IJLi2ELi3ELi4ELi5EEEEEEENS7_IJNSH_IJLi2ELi4EEEENSH_IJLi3ELi5EEEENSH_IJLi6EEEEEEENSH_IJLi0ELi1EEEES1T_EELb1EEEvPKT0_S1Z_PT1_T2_T3_T4_T5_T6_T7_T8_ ; -- Begin function _ZN2ck37kernel_gemm_xdl_waveletmodel_cshuffleINS_53GridwiseGemm_k0mk1_k0nk1_mn_xdl_waveletmodel_cshuffleIDF16_fDF16_DF16_NS_16tensor_operation12element_wise11PassThroughES4_S4_LNS_25InMemoryDataOperationEnumE0ENS_16TensorDescriptorINS_5TupleIJNS_5EmbedINS7_IJiiEEENS7_IJiNS_17integral_constantIiLi1EEEEEELb0EEENS_11PassThroughIiEESF_EEENS7_IJNS_8SequenceIJLi0EEEENSH_IJLi1EEEENSH_IJLi2EEEEEEENS7_IJNSH_IJLi1ELi2EEEENSH_IJLi3EEEENSH_IJLi4EEEEEEENSH_IJLi3ELi4EEEElEESR_SR_Li1ELi256ELi256ELi256ELi128ELi32ELi8ELi8ELi16ELi16ELi8ELi4ENSH_IJLi4ELi64ELi1EEEENSH_IJLi1ELi0ELi2EEEEST_Li2ELi8ELi8ELb0ELi1ESS_ST_ST_Li2ELi8ELi8ELb0ELi1ELi1ELi1ENSH_IJLi1ELi32ELi1ELi8EEEELi4EEEDF16_DF16_S4_S4_S4_NS6_INS7_IJSD_SF_SF_NS_7UnMergeINS7_IJiNSA_IiLi8EEEEEELb0EEESF_EEENS7_IJSI_SJ_SK_SO_SN_EEENS7_IJSM_SN_SO_NSH_IJLi5ELi6EEEENSH_IJLi7EEEEEEENSH_IJLi5ELi7ELi6EEEElEES16_NS6_INS7_IJSD_SF_SF_NSW_INS7_IJiNSA_IiLi256EEEEEELb0EEENSW_INS7_IJiNSA_IiLi128EEEEEELb0EEEEEENS7_IJSI_SJ_SK_SN_SO_EEENS7_IJSM_SN_SO_S12_NSH_IJLi7ELi8EEEEEEENSH_IJLi5ELi6ELi7ELi8EEEElEENS_13TensorAdaptorINS7_IJNSW_ISC_Lb0EEES1K_NS_23Merge_v2_magic_divisionINS7_IJiiSB_SB_EEEEEEEENS7_IJSI_SJ_NSH_IJLi2ELi3ELi4ELi5EEEEEEENS7_IJNSH_IJLi2ELi4EEEENSH_IJLi3ELi5EEEENSH_IJLi6EEEEEEENSH_IJLi0ELi1EEEES1T_EELb1EEEvPKT0_S1Z_PT1_T2_T3_T4_T5_T6_T7_T8_
	.globl	_ZN2ck37kernel_gemm_xdl_waveletmodel_cshuffleINS_53GridwiseGemm_k0mk1_k0nk1_mn_xdl_waveletmodel_cshuffleIDF16_fDF16_DF16_NS_16tensor_operation12element_wise11PassThroughES4_S4_LNS_25InMemoryDataOperationEnumE0ENS_16TensorDescriptorINS_5TupleIJNS_5EmbedINS7_IJiiEEENS7_IJiNS_17integral_constantIiLi1EEEEEELb0EEENS_11PassThroughIiEESF_EEENS7_IJNS_8SequenceIJLi0EEEENSH_IJLi1EEEENSH_IJLi2EEEEEEENS7_IJNSH_IJLi1ELi2EEEENSH_IJLi3EEEENSH_IJLi4EEEEEEENSH_IJLi3ELi4EEEElEESR_SR_Li1ELi256ELi256ELi256ELi128ELi32ELi8ELi8ELi16ELi16ELi8ELi4ENSH_IJLi4ELi64ELi1EEEENSH_IJLi1ELi0ELi2EEEEST_Li2ELi8ELi8ELb0ELi1ESS_ST_ST_Li2ELi8ELi8ELb0ELi1ELi1ELi1ENSH_IJLi1ELi32ELi1ELi8EEEELi4EEEDF16_DF16_S4_S4_S4_NS6_INS7_IJSD_SF_SF_NS_7UnMergeINS7_IJiNSA_IiLi8EEEEEELb0EEESF_EEENS7_IJSI_SJ_SK_SO_SN_EEENS7_IJSM_SN_SO_NSH_IJLi5ELi6EEEENSH_IJLi7EEEEEEENSH_IJLi5ELi7ELi6EEEElEES16_NS6_INS7_IJSD_SF_SF_NSW_INS7_IJiNSA_IiLi256EEEEEELb0EEENSW_INS7_IJiNSA_IiLi128EEEEEELb0EEEEEENS7_IJSI_SJ_SK_SN_SO_EEENS7_IJSM_SN_SO_S12_NSH_IJLi7ELi8EEEEEEENSH_IJLi5ELi6ELi7ELi8EEEElEENS_13TensorAdaptorINS7_IJNSW_ISC_Lb0EEES1K_NS_23Merge_v2_magic_divisionINS7_IJiiSB_SB_EEEEEEEENS7_IJSI_SJ_NSH_IJLi2ELi3ELi4ELi5EEEEEEENS7_IJNSH_IJLi2ELi4EEEENSH_IJLi3ELi5EEEENSH_IJLi6EEEEEEENSH_IJLi0ELi1EEEES1T_EELb1EEEvPKT0_S1Z_PT1_T2_T3_T4_T5_T6_T7_T8_
	.p2align	8
	.type	_ZN2ck37kernel_gemm_xdl_waveletmodel_cshuffleINS_53GridwiseGemm_k0mk1_k0nk1_mn_xdl_waveletmodel_cshuffleIDF16_fDF16_DF16_NS_16tensor_operation12element_wise11PassThroughES4_S4_LNS_25InMemoryDataOperationEnumE0ENS_16TensorDescriptorINS_5TupleIJNS_5EmbedINS7_IJiiEEENS7_IJiNS_17integral_constantIiLi1EEEEEELb0EEENS_11PassThroughIiEESF_EEENS7_IJNS_8SequenceIJLi0EEEENSH_IJLi1EEEENSH_IJLi2EEEEEEENS7_IJNSH_IJLi1ELi2EEEENSH_IJLi3EEEENSH_IJLi4EEEEEEENSH_IJLi3ELi4EEEElEESR_SR_Li1ELi256ELi256ELi256ELi128ELi32ELi8ELi8ELi16ELi16ELi8ELi4ENSH_IJLi4ELi64ELi1EEEENSH_IJLi1ELi0ELi2EEEEST_Li2ELi8ELi8ELb0ELi1ESS_ST_ST_Li2ELi8ELi8ELb0ELi1ELi1ELi1ENSH_IJLi1ELi32ELi1ELi8EEEELi4EEEDF16_DF16_S4_S4_S4_NS6_INS7_IJSD_SF_SF_NS_7UnMergeINS7_IJiNSA_IiLi8EEEEEELb0EEESF_EEENS7_IJSI_SJ_SK_SO_SN_EEENS7_IJSM_SN_SO_NSH_IJLi5ELi6EEEENSH_IJLi7EEEEEEENSH_IJLi5ELi7ELi6EEEElEES16_NS6_INS7_IJSD_SF_SF_NSW_INS7_IJiNSA_IiLi256EEEEEELb0EEENSW_INS7_IJiNSA_IiLi128EEEEEELb0EEEEEENS7_IJSI_SJ_SK_SN_SO_EEENS7_IJSM_SN_SO_S12_NSH_IJLi7ELi8EEEEEEENSH_IJLi5ELi6ELi7ELi8EEEElEENS_13TensorAdaptorINS7_IJNSW_ISC_Lb0EEES1K_NS_23Merge_v2_magic_divisionINS7_IJiiSB_SB_EEEEEEEENS7_IJSI_SJ_NSH_IJLi2ELi3ELi4ELi5EEEEEEENS7_IJNSH_IJLi2ELi4EEEENSH_IJLi3ELi5EEEENSH_IJLi6EEEEEEENSH_IJLi0ELi1EEEES1T_EELb1EEEvPKT0_S1Z_PT1_T2_T3_T4_T5_T6_T7_T8_,@function
_ZN2ck37kernel_gemm_xdl_waveletmodel_cshuffleINS_53GridwiseGemm_k0mk1_k0nk1_mn_xdl_waveletmodel_cshuffleIDF16_fDF16_DF16_NS_16tensor_operation12element_wise11PassThroughES4_S4_LNS_25InMemoryDataOperationEnumE0ENS_16TensorDescriptorINS_5TupleIJNS_5EmbedINS7_IJiiEEENS7_IJiNS_17integral_constantIiLi1EEEEEELb0EEENS_11PassThroughIiEESF_EEENS7_IJNS_8SequenceIJLi0EEEENSH_IJLi1EEEENSH_IJLi2EEEEEEENS7_IJNSH_IJLi1ELi2EEEENSH_IJLi3EEEENSH_IJLi4EEEEEEENSH_IJLi3ELi4EEEElEESR_SR_Li1ELi256ELi256ELi256ELi128ELi32ELi8ELi8ELi16ELi16ELi8ELi4ENSH_IJLi4ELi64ELi1EEEENSH_IJLi1ELi0ELi2EEEEST_Li2ELi8ELi8ELb0ELi1ESS_ST_ST_Li2ELi8ELi8ELb0ELi1ELi1ELi1ENSH_IJLi1ELi32ELi1ELi8EEEELi4EEEDF16_DF16_S4_S4_S4_NS6_INS7_IJSD_SF_SF_NS_7UnMergeINS7_IJiNSA_IiLi8EEEEEELb0EEESF_EEENS7_IJSI_SJ_SK_SO_SN_EEENS7_IJSM_SN_SO_NSH_IJLi5ELi6EEEENSH_IJLi7EEEEEEENSH_IJLi5ELi7ELi6EEEElEES16_NS6_INS7_IJSD_SF_SF_NSW_INS7_IJiNSA_IiLi256EEEEEELb0EEENSW_INS7_IJiNSA_IiLi128EEEEEELb0EEEEEENS7_IJSI_SJ_SK_SN_SO_EEENS7_IJSM_SN_SO_S12_NSH_IJLi7ELi8EEEEEEENSH_IJLi5ELi6ELi7ELi8EEEElEENS_13TensorAdaptorINS7_IJNSW_ISC_Lb0EEES1K_NS_23Merge_v2_magic_divisionINS7_IJiiSB_SB_EEEEEEEENS7_IJSI_SJ_NSH_IJLi2ELi3ELi4ELi5EEEEEEENS7_IJNSH_IJLi2ELi4EEEENSH_IJLi3ELi5EEEENSH_IJLi6EEEEEEENSH_IJLi0ELi1EEEES1T_EELb1EEEvPKT0_S1Z_PT1_T2_T3_T4_T5_T6_T7_T8_: ; @_ZN2ck37kernel_gemm_xdl_waveletmodel_cshuffleINS_53GridwiseGemm_k0mk1_k0nk1_mn_xdl_waveletmodel_cshuffleIDF16_fDF16_DF16_NS_16tensor_operation12element_wise11PassThroughES4_S4_LNS_25InMemoryDataOperationEnumE0ENS_16TensorDescriptorINS_5TupleIJNS_5EmbedINS7_IJiiEEENS7_IJiNS_17integral_constantIiLi1EEEEEELb0EEENS_11PassThroughIiEESF_EEENS7_IJNS_8SequenceIJLi0EEEENSH_IJLi1EEEENSH_IJLi2EEEEEEENS7_IJNSH_IJLi1ELi2EEEENSH_IJLi3EEEENSH_IJLi4EEEEEEENSH_IJLi3ELi4EEEElEESR_SR_Li1ELi256ELi256ELi256ELi128ELi32ELi8ELi8ELi16ELi16ELi8ELi4ENSH_IJLi4ELi64ELi1EEEENSH_IJLi1ELi0ELi2EEEEST_Li2ELi8ELi8ELb0ELi1ESS_ST_ST_Li2ELi8ELi8ELb0ELi1ELi1ELi1ENSH_IJLi1ELi32ELi1ELi8EEEELi4EEEDF16_DF16_S4_S4_S4_NS6_INS7_IJSD_SF_SF_NS_7UnMergeINS7_IJiNSA_IiLi8EEEEEELb0EEESF_EEENS7_IJSI_SJ_SK_SO_SN_EEENS7_IJSM_SN_SO_NSH_IJLi5ELi6EEEENSH_IJLi7EEEEEEENSH_IJLi5ELi7ELi6EEEElEES16_NS6_INS7_IJSD_SF_SF_NSW_INS7_IJiNSA_IiLi256EEEEEELb0EEENSW_INS7_IJiNSA_IiLi128EEEEEELb0EEEEEENS7_IJSI_SJ_SK_SN_SO_EEENS7_IJSM_SN_SO_S12_NSH_IJLi7ELi8EEEEEEENSH_IJLi5ELi6ELi7ELi8EEEElEENS_13TensorAdaptorINS7_IJNSW_ISC_Lb0EEES1K_NS_23Merge_v2_magic_divisionINS7_IJiiSB_SB_EEEEEEEENS7_IJSI_SJ_NSH_IJLi2ELi3ELi4ELi5EEEEEEENS7_IJNSH_IJLi2ELi4EEEENSH_IJLi3ELi5EEEENSH_IJLi6EEEEEEENSH_IJLi0ELi1EEEES1T_EELb1EEEvPKT0_S1Z_PT1_T2_T3_T4_T5_T6_T7_T8_
; %bb.0:
	s_endpgm
	.section	.rodata,"a",@progbits
	.p2align	6, 0x0
	.amdhsa_kernel _ZN2ck37kernel_gemm_xdl_waveletmodel_cshuffleINS_53GridwiseGemm_k0mk1_k0nk1_mn_xdl_waveletmodel_cshuffleIDF16_fDF16_DF16_NS_16tensor_operation12element_wise11PassThroughES4_S4_LNS_25InMemoryDataOperationEnumE0ENS_16TensorDescriptorINS_5TupleIJNS_5EmbedINS7_IJiiEEENS7_IJiNS_17integral_constantIiLi1EEEEEELb0EEENS_11PassThroughIiEESF_EEENS7_IJNS_8SequenceIJLi0EEEENSH_IJLi1EEEENSH_IJLi2EEEEEEENS7_IJNSH_IJLi1ELi2EEEENSH_IJLi3EEEENSH_IJLi4EEEEEEENSH_IJLi3ELi4EEEElEESR_SR_Li1ELi256ELi256ELi256ELi128ELi32ELi8ELi8ELi16ELi16ELi8ELi4ENSH_IJLi4ELi64ELi1EEEENSH_IJLi1ELi0ELi2EEEEST_Li2ELi8ELi8ELb0ELi1ESS_ST_ST_Li2ELi8ELi8ELb0ELi1ELi1ELi1ENSH_IJLi1ELi32ELi1ELi8EEEELi4EEEDF16_DF16_S4_S4_S4_NS6_INS7_IJSD_SF_SF_NS_7UnMergeINS7_IJiNSA_IiLi8EEEEEELb0EEESF_EEENS7_IJSI_SJ_SK_SO_SN_EEENS7_IJSM_SN_SO_NSH_IJLi5ELi6EEEENSH_IJLi7EEEEEEENSH_IJLi5ELi7ELi6EEEElEES16_NS6_INS7_IJSD_SF_SF_NSW_INS7_IJiNSA_IiLi256EEEEEELb0EEENSW_INS7_IJiNSA_IiLi128EEEEEELb0EEEEEENS7_IJSI_SJ_SK_SN_SO_EEENS7_IJSM_SN_SO_S12_NSH_IJLi7ELi8EEEEEEENSH_IJLi5ELi6ELi7ELi8EEEElEENS_13TensorAdaptorINS7_IJNSW_ISC_Lb0EEES1K_NS_23Merge_v2_magic_divisionINS7_IJiiSB_SB_EEEEEEEENS7_IJSI_SJ_NSH_IJLi2ELi3ELi4ELi5EEEEEEENS7_IJNSH_IJLi2ELi4EEEENSH_IJLi3ELi5EEEENSH_IJLi6EEEEEEENSH_IJLi0ELi1EEEES1T_EELb1EEEvPKT0_S1Z_PT1_T2_T3_T4_T5_T6_T7_T8_
		.amdhsa_group_segment_fixed_size 0
		.amdhsa_private_segment_fixed_size 0
		.amdhsa_kernarg_size 276
		.amdhsa_user_sgpr_count 6
		.amdhsa_user_sgpr_private_segment_buffer 1
		.amdhsa_user_sgpr_dispatch_ptr 0
		.amdhsa_user_sgpr_queue_ptr 0
		.amdhsa_user_sgpr_kernarg_segment_ptr 1
		.amdhsa_user_sgpr_dispatch_id 0
		.amdhsa_user_sgpr_flat_scratch_init 0
		.amdhsa_user_sgpr_private_segment_size 0
		.amdhsa_uses_dynamic_stack 0
		.amdhsa_system_sgpr_private_segment_wavefront_offset 0
		.amdhsa_system_sgpr_workgroup_id_x 1
		.amdhsa_system_sgpr_workgroup_id_y 0
		.amdhsa_system_sgpr_workgroup_id_z 0
		.amdhsa_system_sgpr_workgroup_info 0
		.amdhsa_system_vgpr_workitem_id 0
		.amdhsa_next_free_vgpr 1
		.amdhsa_next_free_sgpr 0
		.amdhsa_reserve_vcc 0
		.amdhsa_reserve_flat_scratch 0
		.amdhsa_float_round_mode_32 0
		.amdhsa_float_round_mode_16_64 0
		.amdhsa_float_denorm_mode_32 3
		.amdhsa_float_denorm_mode_16_64 3
		.amdhsa_dx10_clamp 1
		.amdhsa_ieee_mode 1
		.amdhsa_fp16_overflow 0
		.amdhsa_exception_fp_ieee_invalid_op 0
		.amdhsa_exception_fp_denorm_src 0
		.amdhsa_exception_fp_ieee_div_zero 0
		.amdhsa_exception_fp_ieee_overflow 0
		.amdhsa_exception_fp_ieee_underflow 0
		.amdhsa_exception_fp_ieee_inexact 0
		.amdhsa_exception_int_div_zero 0
	.end_amdhsa_kernel
	.section	.text._ZN2ck37kernel_gemm_xdl_waveletmodel_cshuffleINS_53GridwiseGemm_k0mk1_k0nk1_mn_xdl_waveletmodel_cshuffleIDF16_fDF16_DF16_NS_16tensor_operation12element_wise11PassThroughES4_S4_LNS_25InMemoryDataOperationEnumE0ENS_16TensorDescriptorINS_5TupleIJNS_5EmbedINS7_IJiiEEENS7_IJiNS_17integral_constantIiLi1EEEEEELb0EEENS_11PassThroughIiEESF_EEENS7_IJNS_8SequenceIJLi0EEEENSH_IJLi1EEEENSH_IJLi2EEEEEEENS7_IJNSH_IJLi1ELi2EEEENSH_IJLi3EEEENSH_IJLi4EEEEEEENSH_IJLi3ELi4EEEElEESR_SR_Li1ELi256ELi256ELi256ELi128ELi32ELi8ELi8ELi16ELi16ELi8ELi4ENSH_IJLi4ELi64ELi1EEEENSH_IJLi1ELi0ELi2EEEEST_Li2ELi8ELi8ELb0ELi1ESS_ST_ST_Li2ELi8ELi8ELb0ELi1ELi1ELi1ENSH_IJLi1ELi32ELi1ELi8EEEELi4EEEDF16_DF16_S4_S4_S4_NS6_INS7_IJSD_SF_SF_NS_7UnMergeINS7_IJiNSA_IiLi8EEEEEELb0EEESF_EEENS7_IJSI_SJ_SK_SO_SN_EEENS7_IJSM_SN_SO_NSH_IJLi5ELi6EEEENSH_IJLi7EEEEEEENSH_IJLi5ELi7ELi6EEEElEES16_NS6_INS7_IJSD_SF_SF_NSW_INS7_IJiNSA_IiLi256EEEEEELb0EEENSW_INS7_IJiNSA_IiLi128EEEEEELb0EEEEEENS7_IJSI_SJ_SK_SN_SO_EEENS7_IJSM_SN_SO_S12_NSH_IJLi7ELi8EEEEEEENSH_IJLi5ELi6ELi7ELi8EEEElEENS_13TensorAdaptorINS7_IJNSW_ISC_Lb0EEES1K_NS_23Merge_v2_magic_divisionINS7_IJiiSB_SB_EEEEEEEENS7_IJSI_SJ_NSH_IJLi2ELi3ELi4ELi5EEEEEEENS7_IJNSH_IJLi2ELi4EEEENSH_IJLi3ELi5EEEENSH_IJLi6EEEEEEENSH_IJLi0ELi1EEEES1T_EELb1EEEvPKT0_S1Z_PT1_T2_T3_T4_T5_T6_T7_T8_,"axG",@progbits,_ZN2ck37kernel_gemm_xdl_waveletmodel_cshuffleINS_53GridwiseGemm_k0mk1_k0nk1_mn_xdl_waveletmodel_cshuffleIDF16_fDF16_DF16_NS_16tensor_operation12element_wise11PassThroughES4_S4_LNS_25InMemoryDataOperationEnumE0ENS_16TensorDescriptorINS_5TupleIJNS_5EmbedINS7_IJiiEEENS7_IJiNS_17integral_constantIiLi1EEEEEELb0EEENS_11PassThroughIiEESF_EEENS7_IJNS_8SequenceIJLi0EEEENSH_IJLi1EEEENSH_IJLi2EEEEEEENS7_IJNSH_IJLi1ELi2EEEENSH_IJLi3EEEENSH_IJLi4EEEEEEENSH_IJLi3ELi4EEEElEESR_SR_Li1ELi256ELi256ELi256ELi128ELi32ELi8ELi8ELi16ELi16ELi8ELi4ENSH_IJLi4ELi64ELi1EEEENSH_IJLi1ELi0ELi2EEEEST_Li2ELi8ELi8ELb0ELi1ESS_ST_ST_Li2ELi8ELi8ELb0ELi1ELi1ELi1ENSH_IJLi1ELi32ELi1ELi8EEEELi4EEEDF16_DF16_S4_S4_S4_NS6_INS7_IJSD_SF_SF_NS_7UnMergeINS7_IJiNSA_IiLi8EEEEEELb0EEESF_EEENS7_IJSI_SJ_SK_SO_SN_EEENS7_IJSM_SN_SO_NSH_IJLi5ELi6EEEENSH_IJLi7EEEEEEENSH_IJLi5ELi7ELi6EEEElEES16_NS6_INS7_IJSD_SF_SF_NSW_INS7_IJiNSA_IiLi256EEEEEELb0EEENSW_INS7_IJiNSA_IiLi128EEEEEELb0EEEEEENS7_IJSI_SJ_SK_SN_SO_EEENS7_IJSM_SN_SO_S12_NSH_IJLi7ELi8EEEEEEENSH_IJLi5ELi6ELi7ELi8EEEElEENS_13TensorAdaptorINS7_IJNSW_ISC_Lb0EEES1K_NS_23Merge_v2_magic_divisionINS7_IJiiSB_SB_EEEEEEEENS7_IJSI_SJ_NSH_IJLi2ELi3ELi4ELi5EEEEEEENS7_IJNSH_IJLi2ELi4EEEENSH_IJLi3ELi5EEEENSH_IJLi6EEEEEEENSH_IJLi0ELi1EEEES1T_EELb1EEEvPKT0_S1Z_PT1_T2_T3_T4_T5_T6_T7_T8_,comdat
.Lfunc_end1:
	.size	_ZN2ck37kernel_gemm_xdl_waveletmodel_cshuffleINS_53GridwiseGemm_k0mk1_k0nk1_mn_xdl_waveletmodel_cshuffleIDF16_fDF16_DF16_NS_16tensor_operation12element_wise11PassThroughES4_S4_LNS_25InMemoryDataOperationEnumE0ENS_16TensorDescriptorINS_5TupleIJNS_5EmbedINS7_IJiiEEENS7_IJiNS_17integral_constantIiLi1EEEEEELb0EEENS_11PassThroughIiEESF_EEENS7_IJNS_8SequenceIJLi0EEEENSH_IJLi1EEEENSH_IJLi2EEEEEEENS7_IJNSH_IJLi1ELi2EEEENSH_IJLi3EEEENSH_IJLi4EEEEEEENSH_IJLi3ELi4EEEElEESR_SR_Li1ELi256ELi256ELi256ELi128ELi32ELi8ELi8ELi16ELi16ELi8ELi4ENSH_IJLi4ELi64ELi1EEEENSH_IJLi1ELi0ELi2EEEEST_Li2ELi8ELi8ELb0ELi1ESS_ST_ST_Li2ELi8ELi8ELb0ELi1ELi1ELi1ENSH_IJLi1ELi32ELi1ELi8EEEELi4EEEDF16_DF16_S4_S4_S4_NS6_INS7_IJSD_SF_SF_NS_7UnMergeINS7_IJiNSA_IiLi8EEEEEELb0EEESF_EEENS7_IJSI_SJ_SK_SO_SN_EEENS7_IJSM_SN_SO_NSH_IJLi5ELi6EEEENSH_IJLi7EEEEEEENSH_IJLi5ELi7ELi6EEEElEES16_NS6_INS7_IJSD_SF_SF_NSW_INS7_IJiNSA_IiLi256EEEEEELb0EEENSW_INS7_IJiNSA_IiLi128EEEEEELb0EEEEEENS7_IJSI_SJ_SK_SN_SO_EEENS7_IJSM_SN_SO_S12_NSH_IJLi7ELi8EEEEEEENSH_IJLi5ELi6ELi7ELi8EEEElEENS_13TensorAdaptorINS7_IJNSW_ISC_Lb0EEES1K_NS_23Merge_v2_magic_divisionINS7_IJiiSB_SB_EEEEEEEENS7_IJSI_SJ_NSH_IJLi2ELi3ELi4ELi5EEEEEEENS7_IJNSH_IJLi2ELi4EEEENSH_IJLi3ELi5EEEENSH_IJLi6EEEEEEENSH_IJLi0ELi1EEEES1T_EELb1EEEvPKT0_S1Z_PT1_T2_T3_T4_T5_T6_T7_T8_, .Lfunc_end1-_ZN2ck37kernel_gemm_xdl_waveletmodel_cshuffleINS_53GridwiseGemm_k0mk1_k0nk1_mn_xdl_waveletmodel_cshuffleIDF16_fDF16_DF16_NS_16tensor_operation12element_wise11PassThroughES4_S4_LNS_25InMemoryDataOperationEnumE0ENS_16TensorDescriptorINS_5TupleIJNS_5EmbedINS7_IJiiEEENS7_IJiNS_17integral_constantIiLi1EEEEEELb0EEENS_11PassThroughIiEESF_EEENS7_IJNS_8SequenceIJLi0EEEENSH_IJLi1EEEENSH_IJLi2EEEEEEENS7_IJNSH_IJLi1ELi2EEEENSH_IJLi3EEEENSH_IJLi4EEEEEEENSH_IJLi3ELi4EEEElEESR_SR_Li1ELi256ELi256ELi256ELi128ELi32ELi8ELi8ELi16ELi16ELi8ELi4ENSH_IJLi4ELi64ELi1EEEENSH_IJLi1ELi0ELi2EEEEST_Li2ELi8ELi8ELb0ELi1ESS_ST_ST_Li2ELi8ELi8ELb0ELi1ELi1ELi1ENSH_IJLi1ELi32ELi1ELi8EEEELi4EEEDF16_DF16_S4_S4_S4_NS6_INS7_IJSD_SF_SF_NS_7UnMergeINS7_IJiNSA_IiLi8EEEEEELb0EEESF_EEENS7_IJSI_SJ_SK_SO_SN_EEENS7_IJSM_SN_SO_NSH_IJLi5ELi6EEEENSH_IJLi7EEEEEEENSH_IJLi5ELi7ELi6EEEElEES16_NS6_INS7_IJSD_SF_SF_NSW_INS7_IJiNSA_IiLi256EEEEEELb0EEENSW_INS7_IJiNSA_IiLi128EEEEEELb0EEEEEENS7_IJSI_SJ_SK_SN_SO_EEENS7_IJSM_SN_SO_S12_NSH_IJLi7ELi8EEEEEEENSH_IJLi5ELi6ELi7ELi8EEEElEENS_13TensorAdaptorINS7_IJNSW_ISC_Lb0EEES1K_NS_23Merge_v2_magic_divisionINS7_IJiiSB_SB_EEEEEEEENS7_IJSI_SJ_NSH_IJLi2ELi3ELi4ELi5EEEEEEENS7_IJNSH_IJLi2ELi4EEEENSH_IJLi3ELi5EEEENSH_IJLi6EEEEEEENSH_IJLi0ELi1EEEES1T_EELb1EEEvPKT0_S1Z_PT1_T2_T3_T4_T5_T6_T7_T8_
                                        ; -- End function
	.set _ZN2ck37kernel_gemm_xdl_waveletmodel_cshuffleINS_53GridwiseGemm_k0mk1_k0nk1_mn_xdl_waveletmodel_cshuffleIDF16_fDF16_DF16_NS_16tensor_operation12element_wise11PassThroughES4_S4_LNS_25InMemoryDataOperationEnumE0ENS_16TensorDescriptorINS_5TupleIJNS_5EmbedINS7_IJiiEEENS7_IJiNS_17integral_constantIiLi1EEEEEELb0EEENS_11PassThroughIiEESF_EEENS7_IJNS_8SequenceIJLi0EEEENSH_IJLi1EEEENSH_IJLi2EEEEEEENS7_IJNSH_IJLi1ELi2EEEENSH_IJLi3EEEENSH_IJLi4EEEEEEENSH_IJLi3ELi4EEEElEESR_SR_Li1ELi256ELi256ELi256ELi128ELi32ELi8ELi8ELi16ELi16ELi8ELi4ENSH_IJLi4ELi64ELi1EEEENSH_IJLi1ELi0ELi2EEEEST_Li2ELi8ELi8ELb0ELi1ESS_ST_ST_Li2ELi8ELi8ELb0ELi1ELi1ELi1ENSH_IJLi1ELi32ELi1ELi8EEEELi4EEEDF16_DF16_S4_S4_S4_NS6_INS7_IJSD_SF_SF_NS_7UnMergeINS7_IJiNSA_IiLi8EEEEEELb0EEESF_EEENS7_IJSI_SJ_SK_SO_SN_EEENS7_IJSM_SN_SO_NSH_IJLi5ELi6EEEENSH_IJLi7EEEEEEENSH_IJLi5ELi7ELi6EEEElEES16_NS6_INS7_IJSD_SF_SF_NSW_INS7_IJiNSA_IiLi256EEEEEELb0EEENSW_INS7_IJiNSA_IiLi128EEEEEELb0EEEEEENS7_IJSI_SJ_SK_SN_SO_EEENS7_IJSM_SN_SO_S12_NSH_IJLi7ELi8EEEEEEENSH_IJLi5ELi6ELi7ELi8EEEElEENS_13TensorAdaptorINS7_IJNSW_ISC_Lb0EEES1K_NS_23Merge_v2_magic_divisionINS7_IJiiSB_SB_EEEEEEEENS7_IJSI_SJ_NSH_IJLi2ELi3ELi4ELi5EEEEEEENS7_IJNSH_IJLi2ELi4EEEENSH_IJLi3ELi5EEEENSH_IJLi6EEEEEEENSH_IJLi0ELi1EEEES1T_EELb1EEEvPKT0_S1Z_PT1_T2_T3_T4_T5_T6_T7_T8_.num_vgpr, 0
	.set _ZN2ck37kernel_gemm_xdl_waveletmodel_cshuffleINS_53GridwiseGemm_k0mk1_k0nk1_mn_xdl_waveletmodel_cshuffleIDF16_fDF16_DF16_NS_16tensor_operation12element_wise11PassThroughES4_S4_LNS_25InMemoryDataOperationEnumE0ENS_16TensorDescriptorINS_5TupleIJNS_5EmbedINS7_IJiiEEENS7_IJiNS_17integral_constantIiLi1EEEEEELb0EEENS_11PassThroughIiEESF_EEENS7_IJNS_8SequenceIJLi0EEEENSH_IJLi1EEEENSH_IJLi2EEEEEEENS7_IJNSH_IJLi1ELi2EEEENSH_IJLi3EEEENSH_IJLi4EEEEEEENSH_IJLi3ELi4EEEElEESR_SR_Li1ELi256ELi256ELi256ELi128ELi32ELi8ELi8ELi16ELi16ELi8ELi4ENSH_IJLi4ELi64ELi1EEEENSH_IJLi1ELi0ELi2EEEEST_Li2ELi8ELi8ELb0ELi1ESS_ST_ST_Li2ELi8ELi8ELb0ELi1ELi1ELi1ENSH_IJLi1ELi32ELi1ELi8EEEELi4EEEDF16_DF16_S4_S4_S4_NS6_INS7_IJSD_SF_SF_NS_7UnMergeINS7_IJiNSA_IiLi8EEEEEELb0EEESF_EEENS7_IJSI_SJ_SK_SO_SN_EEENS7_IJSM_SN_SO_NSH_IJLi5ELi6EEEENSH_IJLi7EEEEEEENSH_IJLi5ELi7ELi6EEEElEES16_NS6_INS7_IJSD_SF_SF_NSW_INS7_IJiNSA_IiLi256EEEEEELb0EEENSW_INS7_IJiNSA_IiLi128EEEEEELb0EEEEEENS7_IJSI_SJ_SK_SN_SO_EEENS7_IJSM_SN_SO_S12_NSH_IJLi7ELi8EEEEEEENSH_IJLi5ELi6ELi7ELi8EEEElEENS_13TensorAdaptorINS7_IJNSW_ISC_Lb0EEES1K_NS_23Merge_v2_magic_divisionINS7_IJiiSB_SB_EEEEEEEENS7_IJSI_SJ_NSH_IJLi2ELi3ELi4ELi5EEEEEEENS7_IJNSH_IJLi2ELi4EEEENSH_IJLi3ELi5EEEENSH_IJLi6EEEEEEENSH_IJLi0ELi1EEEES1T_EELb1EEEvPKT0_S1Z_PT1_T2_T3_T4_T5_T6_T7_T8_.num_agpr, 0
	.set _ZN2ck37kernel_gemm_xdl_waveletmodel_cshuffleINS_53GridwiseGemm_k0mk1_k0nk1_mn_xdl_waveletmodel_cshuffleIDF16_fDF16_DF16_NS_16tensor_operation12element_wise11PassThroughES4_S4_LNS_25InMemoryDataOperationEnumE0ENS_16TensorDescriptorINS_5TupleIJNS_5EmbedINS7_IJiiEEENS7_IJiNS_17integral_constantIiLi1EEEEEELb0EEENS_11PassThroughIiEESF_EEENS7_IJNS_8SequenceIJLi0EEEENSH_IJLi1EEEENSH_IJLi2EEEEEEENS7_IJNSH_IJLi1ELi2EEEENSH_IJLi3EEEENSH_IJLi4EEEEEEENSH_IJLi3ELi4EEEElEESR_SR_Li1ELi256ELi256ELi256ELi128ELi32ELi8ELi8ELi16ELi16ELi8ELi4ENSH_IJLi4ELi64ELi1EEEENSH_IJLi1ELi0ELi2EEEEST_Li2ELi8ELi8ELb0ELi1ESS_ST_ST_Li2ELi8ELi8ELb0ELi1ELi1ELi1ENSH_IJLi1ELi32ELi1ELi8EEEELi4EEEDF16_DF16_S4_S4_S4_NS6_INS7_IJSD_SF_SF_NS_7UnMergeINS7_IJiNSA_IiLi8EEEEEELb0EEESF_EEENS7_IJSI_SJ_SK_SO_SN_EEENS7_IJSM_SN_SO_NSH_IJLi5ELi6EEEENSH_IJLi7EEEEEEENSH_IJLi5ELi7ELi6EEEElEES16_NS6_INS7_IJSD_SF_SF_NSW_INS7_IJiNSA_IiLi256EEEEEELb0EEENSW_INS7_IJiNSA_IiLi128EEEEEELb0EEEEEENS7_IJSI_SJ_SK_SN_SO_EEENS7_IJSM_SN_SO_S12_NSH_IJLi7ELi8EEEEEEENSH_IJLi5ELi6ELi7ELi8EEEElEENS_13TensorAdaptorINS7_IJNSW_ISC_Lb0EEES1K_NS_23Merge_v2_magic_divisionINS7_IJiiSB_SB_EEEEEEEENS7_IJSI_SJ_NSH_IJLi2ELi3ELi4ELi5EEEEEEENS7_IJNSH_IJLi2ELi4EEEENSH_IJLi3ELi5EEEENSH_IJLi6EEEEEEENSH_IJLi0ELi1EEEES1T_EELb1EEEvPKT0_S1Z_PT1_T2_T3_T4_T5_T6_T7_T8_.numbered_sgpr, 0
	.set _ZN2ck37kernel_gemm_xdl_waveletmodel_cshuffleINS_53GridwiseGemm_k0mk1_k0nk1_mn_xdl_waveletmodel_cshuffleIDF16_fDF16_DF16_NS_16tensor_operation12element_wise11PassThroughES4_S4_LNS_25InMemoryDataOperationEnumE0ENS_16TensorDescriptorINS_5TupleIJNS_5EmbedINS7_IJiiEEENS7_IJiNS_17integral_constantIiLi1EEEEEELb0EEENS_11PassThroughIiEESF_EEENS7_IJNS_8SequenceIJLi0EEEENSH_IJLi1EEEENSH_IJLi2EEEEEEENS7_IJNSH_IJLi1ELi2EEEENSH_IJLi3EEEENSH_IJLi4EEEEEEENSH_IJLi3ELi4EEEElEESR_SR_Li1ELi256ELi256ELi256ELi128ELi32ELi8ELi8ELi16ELi16ELi8ELi4ENSH_IJLi4ELi64ELi1EEEENSH_IJLi1ELi0ELi2EEEEST_Li2ELi8ELi8ELb0ELi1ESS_ST_ST_Li2ELi8ELi8ELb0ELi1ELi1ELi1ENSH_IJLi1ELi32ELi1ELi8EEEELi4EEEDF16_DF16_S4_S4_S4_NS6_INS7_IJSD_SF_SF_NS_7UnMergeINS7_IJiNSA_IiLi8EEEEEELb0EEESF_EEENS7_IJSI_SJ_SK_SO_SN_EEENS7_IJSM_SN_SO_NSH_IJLi5ELi6EEEENSH_IJLi7EEEEEEENSH_IJLi5ELi7ELi6EEEElEES16_NS6_INS7_IJSD_SF_SF_NSW_INS7_IJiNSA_IiLi256EEEEEELb0EEENSW_INS7_IJiNSA_IiLi128EEEEEELb0EEEEEENS7_IJSI_SJ_SK_SN_SO_EEENS7_IJSM_SN_SO_S12_NSH_IJLi7ELi8EEEEEEENSH_IJLi5ELi6ELi7ELi8EEEElEENS_13TensorAdaptorINS7_IJNSW_ISC_Lb0EEES1K_NS_23Merge_v2_magic_divisionINS7_IJiiSB_SB_EEEEEEEENS7_IJSI_SJ_NSH_IJLi2ELi3ELi4ELi5EEEEEEENS7_IJNSH_IJLi2ELi4EEEENSH_IJLi3ELi5EEEENSH_IJLi6EEEEEEENSH_IJLi0ELi1EEEES1T_EELb1EEEvPKT0_S1Z_PT1_T2_T3_T4_T5_T6_T7_T8_.num_named_barrier, 0
	.set _ZN2ck37kernel_gemm_xdl_waveletmodel_cshuffleINS_53GridwiseGemm_k0mk1_k0nk1_mn_xdl_waveletmodel_cshuffleIDF16_fDF16_DF16_NS_16tensor_operation12element_wise11PassThroughES4_S4_LNS_25InMemoryDataOperationEnumE0ENS_16TensorDescriptorINS_5TupleIJNS_5EmbedINS7_IJiiEEENS7_IJiNS_17integral_constantIiLi1EEEEEELb0EEENS_11PassThroughIiEESF_EEENS7_IJNS_8SequenceIJLi0EEEENSH_IJLi1EEEENSH_IJLi2EEEEEEENS7_IJNSH_IJLi1ELi2EEEENSH_IJLi3EEEENSH_IJLi4EEEEEEENSH_IJLi3ELi4EEEElEESR_SR_Li1ELi256ELi256ELi256ELi128ELi32ELi8ELi8ELi16ELi16ELi8ELi4ENSH_IJLi4ELi64ELi1EEEENSH_IJLi1ELi0ELi2EEEEST_Li2ELi8ELi8ELb0ELi1ESS_ST_ST_Li2ELi8ELi8ELb0ELi1ELi1ELi1ENSH_IJLi1ELi32ELi1ELi8EEEELi4EEEDF16_DF16_S4_S4_S4_NS6_INS7_IJSD_SF_SF_NS_7UnMergeINS7_IJiNSA_IiLi8EEEEEELb0EEESF_EEENS7_IJSI_SJ_SK_SO_SN_EEENS7_IJSM_SN_SO_NSH_IJLi5ELi6EEEENSH_IJLi7EEEEEEENSH_IJLi5ELi7ELi6EEEElEES16_NS6_INS7_IJSD_SF_SF_NSW_INS7_IJiNSA_IiLi256EEEEEELb0EEENSW_INS7_IJiNSA_IiLi128EEEEEELb0EEEEEENS7_IJSI_SJ_SK_SN_SO_EEENS7_IJSM_SN_SO_S12_NSH_IJLi7ELi8EEEEEEENSH_IJLi5ELi6ELi7ELi8EEEElEENS_13TensorAdaptorINS7_IJNSW_ISC_Lb0EEES1K_NS_23Merge_v2_magic_divisionINS7_IJiiSB_SB_EEEEEEEENS7_IJSI_SJ_NSH_IJLi2ELi3ELi4ELi5EEEEEEENS7_IJNSH_IJLi2ELi4EEEENSH_IJLi3ELi5EEEENSH_IJLi6EEEEEEENSH_IJLi0ELi1EEEES1T_EELb1EEEvPKT0_S1Z_PT1_T2_T3_T4_T5_T6_T7_T8_.private_seg_size, 0
	.set _ZN2ck37kernel_gemm_xdl_waveletmodel_cshuffleINS_53GridwiseGemm_k0mk1_k0nk1_mn_xdl_waveletmodel_cshuffleIDF16_fDF16_DF16_NS_16tensor_operation12element_wise11PassThroughES4_S4_LNS_25InMemoryDataOperationEnumE0ENS_16TensorDescriptorINS_5TupleIJNS_5EmbedINS7_IJiiEEENS7_IJiNS_17integral_constantIiLi1EEEEEELb0EEENS_11PassThroughIiEESF_EEENS7_IJNS_8SequenceIJLi0EEEENSH_IJLi1EEEENSH_IJLi2EEEEEEENS7_IJNSH_IJLi1ELi2EEEENSH_IJLi3EEEENSH_IJLi4EEEEEEENSH_IJLi3ELi4EEEElEESR_SR_Li1ELi256ELi256ELi256ELi128ELi32ELi8ELi8ELi16ELi16ELi8ELi4ENSH_IJLi4ELi64ELi1EEEENSH_IJLi1ELi0ELi2EEEEST_Li2ELi8ELi8ELb0ELi1ESS_ST_ST_Li2ELi8ELi8ELb0ELi1ELi1ELi1ENSH_IJLi1ELi32ELi1ELi8EEEELi4EEEDF16_DF16_S4_S4_S4_NS6_INS7_IJSD_SF_SF_NS_7UnMergeINS7_IJiNSA_IiLi8EEEEEELb0EEESF_EEENS7_IJSI_SJ_SK_SO_SN_EEENS7_IJSM_SN_SO_NSH_IJLi5ELi6EEEENSH_IJLi7EEEEEEENSH_IJLi5ELi7ELi6EEEElEES16_NS6_INS7_IJSD_SF_SF_NSW_INS7_IJiNSA_IiLi256EEEEEELb0EEENSW_INS7_IJiNSA_IiLi128EEEEEELb0EEEEEENS7_IJSI_SJ_SK_SN_SO_EEENS7_IJSM_SN_SO_S12_NSH_IJLi7ELi8EEEEEEENSH_IJLi5ELi6ELi7ELi8EEEElEENS_13TensorAdaptorINS7_IJNSW_ISC_Lb0EEES1K_NS_23Merge_v2_magic_divisionINS7_IJiiSB_SB_EEEEEEEENS7_IJSI_SJ_NSH_IJLi2ELi3ELi4ELi5EEEEEEENS7_IJNSH_IJLi2ELi4EEEENSH_IJLi3ELi5EEEENSH_IJLi6EEEEEEENSH_IJLi0ELi1EEEES1T_EELb1EEEvPKT0_S1Z_PT1_T2_T3_T4_T5_T6_T7_T8_.uses_vcc, 0
	.set _ZN2ck37kernel_gemm_xdl_waveletmodel_cshuffleINS_53GridwiseGemm_k0mk1_k0nk1_mn_xdl_waveletmodel_cshuffleIDF16_fDF16_DF16_NS_16tensor_operation12element_wise11PassThroughES4_S4_LNS_25InMemoryDataOperationEnumE0ENS_16TensorDescriptorINS_5TupleIJNS_5EmbedINS7_IJiiEEENS7_IJiNS_17integral_constantIiLi1EEEEEELb0EEENS_11PassThroughIiEESF_EEENS7_IJNS_8SequenceIJLi0EEEENSH_IJLi1EEEENSH_IJLi2EEEEEEENS7_IJNSH_IJLi1ELi2EEEENSH_IJLi3EEEENSH_IJLi4EEEEEEENSH_IJLi3ELi4EEEElEESR_SR_Li1ELi256ELi256ELi256ELi128ELi32ELi8ELi8ELi16ELi16ELi8ELi4ENSH_IJLi4ELi64ELi1EEEENSH_IJLi1ELi0ELi2EEEEST_Li2ELi8ELi8ELb0ELi1ESS_ST_ST_Li2ELi8ELi8ELb0ELi1ELi1ELi1ENSH_IJLi1ELi32ELi1ELi8EEEELi4EEEDF16_DF16_S4_S4_S4_NS6_INS7_IJSD_SF_SF_NS_7UnMergeINS7_IJiNSA_IiLi8EEEEEELb0EEESF_EEENS7_IJSI_SJ_SK_SO_SN_EEENS7_IJSM_SN_SO_NSH_IJLi5ELi6EEEENSH_IJLi7EEEEEEENSH_IJLi5ELi7ELi6EEEElEES16_NS6_INS7_IJSD_SF_SF_NSW_INS7_IJiNSA_IiLi256EEEEEELb0EEENSW_INS7_IJiNSA_IiLi128EEEEEELb0EEEEEENS7_IJSI_SJ_SK_SN_SO_EEENS7_IJSM_SN_SO_S12_NSH_IJLi7ELi8EEEEEEENSH_IJLi5ELi6ELi7ELi8EEEElEENS_13TensorAdaptorINS7_IJNSW_ISC_Lb0EEES1K_NS_23Merge_v2_magic_divisionINS7_IJiiSB_SB_EEEEEEEENS7_IJSI_SJ_NSH_IJLi2ELi3ELi4ELi5EEEEEEENS7_IJNSH_IJLi2ELi4EEEENSH_IJLi3ELi5EEEENSH_IJLi6EEEEEEENSH_IJLi0ELi1EEEES1T_EELb1EEEvPKT0_S1Z_PT1_T2_T3_T4_T5_T6_T7_T8_.uses_flat_scratch, 0
	.set _ZN2ck37kernel_gemm_xdl_waveletmodel_cshuffleINS_53GridwiseGemm_k0mk1_k0nk1_mn_xdl_waveletmodel_cshuffleIDF16_fDF16_DF16_NS_16tensor_operation12element_wise11PassThroughES4_S4_LNS_25InMemoryDataOperationEnumE0ENS_16TensorDescriptorINS_5TupleIJNS_5EmbedINS7_IJiiEEENS7_IJiNS_17integral_constantIiLi1EEEEEELb0EEENS_11PassThroughIiEESF_EEENS7_IJNS_8SequenceIJLi0EEEENSH_IJLi1EEEENSH_IJLi2EEEEEEENS7_IJNSH_IJLi1ELi2EEEENSH_IJLi3EEEENSH_IJLi4EEEEEEENSH_IJLi3ELi4EEEElEESR_SR_Li1ELi256ELi256ELi256ELi128ELi32ELi8ELi8ELi16ELi16ELi8ELi4ENSH_IJLi4ELi64ELi1EEEENSH_IJLi1ELi0ELi2EEEEST_Li2ELi8ELi8ELb0ELi1ESS_ST_ST_Li2ELi8ELi8ELb0ELi1ELi1ELi1ENSH_IJLi1ELi32ELi1ELi8EEEELi4EEEDF16_DF16_S4_S4_S4_NS6_INS7_IJSD_SF_SF_NS_7UnMergeINS7_IJiNSA_IiLi8EEEEEELb0EEESF_EEENS7_IJSI_SJ_SK_SO_SN_EEENS7_IJSM_SN_SO_NSH_IJLi5ELi6EEEENSH_IJLi7EEEEEEENSH_IJLi5ELi7ELi6EEEElEES16_NS6_INS7_IJSD_SF_SF_NSW_INS7_IJiNSA_IiLi256EEEEEELb0EEENSW_INS7_IJiNSA_IiLi128EEEEEELb0EEEEEENS7_IJSI_SJ_SK_SN_SO_EEENS7_IJSM_SN_SO_S12_NSH_IJLi7ELi8EEEEEEENSH_IJLi5ELi6ELi7ELi8EEEElEENS_13TensorAdaptorINS7_IJNSW_ISC_Lb0EEES1K_NS_23Merge_v2_magic_divisionINS7_IJiiSB_SB_EEEEEEEENS7_IJSI_SJ_NSH_IJLi2ELi3ELi4ELi5EEEEEEENS7_IJNSH_IJLi2ELi4EEEENSH_IJLi3ELi5EEEENSH_IJLi6EEEEEEENSH_IJLi0ELi1EEEES1T_EELb1EEEvPKT0_S1Z_PT1_T2_T3_T4_T5_T6_T7_T8_.has_dyn_sized_stack, 0
	.set _ZN2ck37kernel_gemm_xdl_waveletmodel_cshuffleINS_53GridwiseGemm_k0mk1_k0nk1_mn_xdl_waveletmodel_cshuffleIDF16_fDF16_DF16_NS_16tensor_operation12element_wise11PassThroughES4_S4_LNS_25InMemoryDataOperationEnumE0ENS_16TensorDescriptorINS_5TupleIJNS_5EmbedINS7_IJiiEEENS7_IJiNS_17integral_constantIiLi1EEEEEELb0EEENS_11PassThroughIiEESF_EEENS7_IJNS_8SequenceIJLi0EEEENSH_IJLi1EEEENSH_IJLi2EEEEEEENS7_IJNSH_IJLi1ELi2EEEENSH_IJLi3EEEENSH_IJLi4EEEEEEENSH_IJLi3ELi4EEEElEESR_SR_Li1ELi256ELi256ELi256ELi128ELi32ELi8ELi8ELi16ELi16ELi8ELi4ENSH_IJLi4ELi64ELi1EEEENSH_IJLi1ELi0ELi2EEEEST_Li2ELi8ELi8ELb0ELi1ESS_ST_ST_Li2ELi8ELi8ELb0ELi1ELi1ELi1ENSH_IJLi1ELi32ELi1ELi8EEEELi4EEEDF16_DF16_S4_S4_S4_NS6_INS7_IJSD_SF_SF_NS_7UnMergeINS7_IJiNSA_IiLi8EEEEEELb0EEESF_EEENS7_IJSI_SJ_SK_SO_SN_EEENS7_IJSM_SN_SO_NSH_IJLi5ELi6EEEENSH_IJLi7EEEEEEENSH_IJLi5ELi7ELi6EEEElEES16_NS6_INS7_IJSD_SF_SF_NSW_INS7_IJiNSA_IiLi256EEEEEELb0EEENSW_INS7_IJiNSA_IiLi128EEEEEELb0EEEEEENS7_IJSI_SJ_SK_SN_SO_EEENS7_IJSM_SN_SO_S12_NSH_IJLi7ELi8EEEEEEENSH_IJLi5ELi6ELi7ELi8EEEElEENS_13TensorAdaptorINS7_IJNSW_ISC_Lb0EEES1K_NS_23Merge_v2_magic_divisionINS7_IJiiSB_SB_EEEEEEEENS7_IJSI_SJ_NSH_IJLi2ELi3ELi4ELi5EEEEEEENS7_IJNSH_IJLi2ELi4EEEENSH_IJLi3ELi5EEEENSH_IJLi6EEEEEEENSH_IJLi0ELi1EEEES1T_EELb1EEEvPKT0_S1Z_PT1_T2_T3_T4_T5_T6_T7_T8_.has_recursion, 0
	.set _ZN2ck37kernel_gemm_xdl_waveletmodel_cshuffleINS_53GridwiseGemm_k0mk1_k0nk1_mn_xdl_waveletmodel_cshuffleIDF16_fDF16_DF16_NS_16tensor_operation12element_wise11PassThroughES4_S4_LNS_25InMemoryDataOperationEnumE0ENS_16TensorDescriptorINS_5TupleIJNS_5EmbedINS7_IJiiEEENS7_IJiNS_17integral_constantIiLi1EEEEEELb0EEENS_11PassThroughIiEESF_EEENS7_IJNS_8SequenceIJLi0EEEENSH_IJLi1EEEENSH_IJLi2EEEEEEENS7_IJNSH_IJLi1ELi2EEEENSH_IJLi3EEEENSH_IJLi4EEEEEEENSH_IJLi3ELi4EEEElEESR_SR_Li1ELi256ELi256ELi256ELi128ELi32ELi8ELi8ELi16ELi16ELi8ELi4ENSH_IJLi4ELi64ELi1EEEENSH_IJLi1ELi0ELi2EEEEST_Li2ELi8ELi8ELb0ELi1ESS_ST_ST_Li2ELi8ELi8ELb0ELi1ELi1ELi1ENSH_IJLi1ELi32ELi1ELi8EEEELi4EEEDF16_DF16_S4_S4_S4_NS6_INS7_IJSD_SF_SF_NS_7UnMergeINS7_IJiNSA_IiLi8EEEEEELb0EEESF_EEENS7_IJSI_SJ_SK_SO_SN_EEENS7_IJSM_SN_SO_NSH_IJLi5ELi6EEEENSH_IJLi7EEEEEEENSH_IJLi5ELi7ELi6EEEElEES16_NS6_INS7_IJSD_SF_SF_NSW_INS7_IJiNSA_IiLi256EEEEEELb0EEENSW_INS7_IJiNSA_IiLi128EEEEEELb0EEEEEENS7_IJSI_SJ_SK_SN_SO_EEENS7_IJSM_SN_SO_S12_NSH_IJLi7ELi8EEEEEEENSH_IJLi5ELi6ELi7ELi8EEEElEENS_13TensorAdaptorINS7_IJNSW_ISC_Lb0EEES1K_NS_23Merge_v2_magic_divisionINS7_IJiiSB_SB_EEEEEEEENS7_IJSI_SJ_NSH_IJLi2ELi3ELi4ELi5EEEEEEENS7_IJNSH_IJLi2ELi4EEEENSH_IJLi3ELi5EEEENSH_IJLi6EEEEEEENSH_IJLi0ELi1EEEES1T_EELb1EEEvPKT0_S1Z_PT1_T2_T3_T4_T5_T6_T7_T8_.has_indirect_call, 0
	.section	.AMDGPU.csdata,"",@progbits
; Kernel info:
; codeLenInByte = 4
; TotalNumSgprs: 4
; NumVgprs: 0
; ScratchSize: 0
; MemoryBound: 0
; FloatMode: 240
; IeeeMode: 1
; LDSByteSize: 0 bytes/workgroup (compile time only)
; SGPRBlocks: 0
; VGPRBlocks: 0
; NumSGPRsForWavesPerEU: 4
; NumVGPRsForWavesPerEU: 1
; Occupancy: 10
; WaveLimiterHint : 0
; COMPUTE_PGM_RSRC2:SCRATCH_EN: 0
; COMPUTE_PGM_RSRC2:USER_SGPR: 6
; COMPUTE_PGM_RSRC2:TRAP_HANDLER: 0
; COMPUTE_PGM_RSRC2:TGID_X_EN: 1
; COMPUTE_PGM_RSRC2:TGID_Y_EN: 0
; COMPUTE_PGM_RSRC2:TGID_Z_EN: 0
; COMPUTE_PGM_RSRC2:TIDIG_COMP_CNT: 0
	.section	.text._ZN2ck37kernel_gemm_xdl_waveletmodel_cshuffleINS_53GridwiseGemm_k0mk1_k0nk1_mn_xdl_waveletmodel_cshuffleIDF16_fDF16_DF16_NS_16tensor_operation12element_wise11PassThroughES4_S4_LNS_25InMemoryDataOperationEnumE0ENS_16TensorDescriptorINS_5TupleIJNS_5EmbedINS7_IJiiEEENS7_IJiNS_17integral_constantIiLi1EEEEEELb0EEENS_11PassThroughIiEESF_EEENS7_IJNS_8SequenceIJLi0EEEENSH_IJLi1EEEENSH_IJLi2EEEEEEENS7_IJNSH_IJLi1ELi2EEEENSH_IJLi3EEEENSH_IJLi4EEEEEEENSH_IJLi3ELi4EEEElEESR_SR_Li1ELi256ELi256ELi256ELi128ELi32ELi8ELi8ELi16ELi16ELi8ELi4ENSH_IJLi4ELi64ELi1EEEENSH_IJLi1ELi0ELi2EEEEST_Li2ELi8ELi8ELb0ELi1ESS_ST_ST_Li2ELi8ELi8ELb0ELi1ELi1ELi1ENSH_IJLi1ELi32ELi1ELi8EEEELi4EEEDF16_DF16_S4_S4_S4_NS6_INS7_IJSD_SF_SF_NS_7UnMergeINS7_IJiNSA_IiLi8EEEEEELb0EEESF_EEENS7_IJSI_SJ_SK_SO_SN_EEENS7_IJSM_SN_SO_NSH_IJLi5ELi6EEEENSH_IJLi7EEEEEEENSH_IJLi5ELi7ELi6EEEElEES16_NS6_INS7_IJSD_SF_SF_NSW_INS7_IJiNSA_IiLi256EEEEEELb0EEENSW_INS7_IJiNSA_IiLi128EEEEEELb0EEEEEENS7_IJSI_SJ_SK_SN_SO_EEENS7_IJSM_SN_SO_S12_NSH_IJLi7ELi8EEEEEEENSH_IJLi5ELi6ELi7ELi8EEEElEENS_13TensorAdaptorINS7_IJNSW_ISC_Lb0EEES1K_NS_23Merge_v2_magic_divisionINS7_IJiiSB_SB_EEEEEEEENS7_IJSI_SJ_NSH_IJLi2ELi3ELi4ELi5EEEEEEENS7_IJNSH_IJLi2ELi4EEEENSH_IJLi3ELi5EEEENSH_IJLi6EEEEEEENSH_IJLi0ELi1EEEES1T_EELb0EEEvPKT0_S1Z_PT1_T2_T3_T4_T5_T6_T7_T8_,"axG",@progbits,_ZN2ck37kernel_gemm_xdl_waveletmodel_cshuffleINS_53GridwiseGemm_k0mk1_k0nk1_mn_xdl_waveletmodel_cshuffleIDF16_fDF16_DF16_NS_16tensor_operation12element_wise11PassThroughES4_S4_LNS_25InMemoryDataOperationEnumE0ENS_16TensorDescriptorINS_5TupleIJNS_5EmbedINS7_IJiiEEENS7_IJiNS_17integral_constantIiLi1EEEEEELb0EEENS_11PassThroughIiEESF_EEENS7_IJNS_8SequenceIJLi0EEEENSH_IJLi1EEEENSH_IJLi2EEEEEEENS7_IJNSH_IJLi1ELi2EEEENSH_IJLi3EEEENSH_IJLi4EEEEEEENSH_IJLi3ELi4EEEElEESR_SR_Li1ELi256ELi256ELi256ELi128ELi32ELi8ELi8ELi16ELi16ELi8ELi4ENSH_IJLi4ELi64ELi1EEEENSH_IJLi1ELi0ELi2EEEEST_Li2ELi8ELi8ELb0ELi1ESS_ST_ST_Li2ELi8ELi8ELb0ELi1ELi1ELi1ENSH_IJLi1ELi32ELi1ELi8EEEELi4EEEDF16_DF16_S4_S4_S4_NS6_INS7_IJSD_SF_SF_NS_7UnMergeINS7_IJiNSA_IiLi8EEEEEELb0EEESF_EEENS7_IJSI_SJ_SK_SO_SN_EEENS7_IJSM_SN_SO_NSH_IJLi5ELi6EEEENSH_IJLi7EEEEEEENSH_IJLi5ELi7ELi6EEEElEES16_NS6_INS7_IJSD_SF_SF_NSW_INS7_IJiNSA_IiLi256EEEEEELb0EEENSW_INS7_IJiNSA_IiLi128EEEEEELb0EEEEEENS7_IJSI_SJ_SK_SN_SO_EEENS7_IJSM_SN_SO_S12_NSH_IJLi7ELi8EEEEEEENSH_IJLi5ELi6ELi7ELi8EEEElEENS_13TensorAdaptorINS7_IJNSW_ISC_Lb0EEES1K_NS_23Merge_v2_magic_divisionINS7_IJiiSB_SB_EEEEEEEENS7_IJSI_SJ_NSH_IJLi2ELi3ELi4ELi5EEEEEEENS7_IJNSH_IJLi2ELi4EEEENSH_IJLi3ELi5EEEENSH_IJLi6EEEEEEENSH_IJLi0ELi1EEEES1T_EELb0EEEvPKT0_S1Z_PT1_T2_T3_T4_T5_T6_T7_T8_,comdat
	.protected	_ZN2ck37kernel_gemm_xdl_waveletmodel_cshuffleINS_53GridwiseGemm_k0mk1_k0nk1_mn_xdl_waveletmodel_cshuffleIDF16_fDF16_DF16_NS_16tensor_operation12element_wise11PassThroughES4_S4_LNS_25InMemoryDataOperationEnumE0ENS_16TensorDescriptorINS_5TupleIJNS_5EmbedINS7_IJiiEEENS7_IJiNS_17integral_constantIiLi1EEEEEELb0EEENS_11PassThroughIiEESF_EEENS7_IJNS_8SequenceIJLi0EEEENSH_IJLi1EEEENSH_IJLi2EEEEEEENS7_IJNSH_IJLi1ELi2EEEENSH_IJLi3EEEENSH_IJLi4EEEEEEENSH_IJLi3ELi4EEEElEESR_SR_Li1ELi256ELi256ELi256ELi128ELi32ELi8ELi8ELi16ELi16ELi8ELi4ENSH_IJLi4ELi64ELi1EEEENSH_IJLi1ELi0ELi2EEEEST_Li2ELi8ELi8ELb0ELi1ESS_ST_ST_Li2ELi8ELi8ELb0ELi1ELi1ELi1ENSH_IJLi1ELi32ELi1ELi8EEEELi4EEEDF16_DF16_S4_S4_S4_NS6_INS7_IJSD_SF_SF_NS_7UnMergeINS7_IJiNSA_IiLi8EEEEEELb0EEESF_EEENS7_IJSI_SJ_SK_SO_SN_EEENS7_IJSM_SN_SO_NSH_IJLi5ELi6EEEENSH_IJLi7EEEEEEENSH_IJLi5ELi7ELi6EEEElEES16_NS6_INS7_IJSD_SF_SF_NSW_INS7_IJiNSA_IiLi256EEEEEELb0EEENSW_INS7_IJiNSA_IiLi128EEEEEELb0EEEEEENS7_IJSI_SJ_SK_SN_SO_EEENS7_IJSM_SN_SO_S12_NSH_IJLi7ELi8EEEEEEENSH_IJLi5ELi6ELi7ELi8EEEElEENS_13TensorAdaptorINS7_IJNSW_ISC_Lb0EEES1K_NS_23Merge_v2_magic_divisionINS7_IJiiSB_SB_EEEEEEEENS7_IJSI_SJ_NSH_IJLi2ELi3ELi4ELi5EEEEEEENS7_IJNSH_IJLi2ELi4EEEENSH_IJLi3ELi5EEEENSH_IJLi6EEEEEEENSH_IJLi0ELi1EEEES1T_EELb0EEEvPKT0_S1Z_PT1_T2_T3_T4_T5_T6_T7_T8_ ; -- Begin function _ZN2ck37kernel_gemm_xdl_waveletmodel_cshuffleINS_53GridwiseGemm_k0mk1_k0nk1_mn_xdl_waveletmodel_cshuffleIDF16_fDF16_DF16_NS_16tensor_operation12element_wise11PassThroughES4_S4_LNS_25InMemoryDataOperationEnumE0ENS_16TensorDescriptorINS_5TupleIJNS_5EmbedINS7_IJiiEEENS7_IJiNS_17integral_constantIiLi1EEEEEELb0EEENS_11PassThroughIiEESF_EEENS7_IJNS_8SequenceIJLi0EEEENSH_IJLi1EEEENSH_IJLi2EEEEEEENS7_IJNSH_IJLi1ELi2EEEENSH_IJLi3EEEENSH_IJLi4EEEEEEENSH_IJLi3ELi4EEEElEESR_SR_Li1ELi256ELi256ELi256ELi128ELi32ELi8ELi8ELi16ELi16ELi8ELi4ENSH_IJLi4ELi64ELi1EEEENSH_IJLi1ELi0ELi2EEEEST_Li2ELi8ELi8ELb0ELi1ESS_ST_ST_Li2ELi8ELi8ELb0ELi1ELi1ELi1ENSH_IJLi1ELi32ELi1ELi8EEEELi4EEEDF16_DF16_S4_S4_S4_NS6_INS7_IJSD_SF_SF_NS_7UnMergeINS7_IJiNSA_IiLi8EEEEEELb0EEESF_EEENS7_IJSI_SJ_SK_SO_SN_EEENS7_IJSM_SN_SO_NSH_IJLi5ELi6EEEENSH_IJLi7EEEEEEENSH_IJLi5ELi7ELi6EEEElEES16_NS6_INS7_IJSD_SF_SF_NSW_INS7_IJiNSA_IiLi256EEEEEELb0EEENSW_INS7_IJiNSA_IiLi128EEEEEELb0EEEEEENS7_IJSI_SJ_SK_SN_SO_EEENS7_IJSM_SN_SO_S12_NSH_IJLi7ELi8EEEEEEENSH_IJLi5ELi6ELi7ELi8EEEElEENS_13TensorAdaptorINS7_IJNSW_ISC_Lb0EEES1K_NS_23Merge_v2_magic_divisionINS7_IJiiSB_SB_EEEEEEEENS7_IJSI_SJ_NSH_IJLi2ELi3ELi4ELi5EEEEEEENS7_IJNSH_IJLi2ELi4EEEENSH_IJLi3ELi5EEEENSH_IJLi6EEEEEEENSH_IJLi0ELi1EEEES1T_EELb0EEEvPKT0_S1Z_PT1_T2_T3_T4_T5_T6_T7_T8_
	.globl	_ZN2ck37kernel_gemm_xdl_waveletmodel_cshuffleINS_53GridwiseGemm_k0mk1_k0nk1_mn_xdl_waveletmodel_cshuffleIDF16_fDF16_DF16_NS_16tensor_operation12element_wise11PassThroughES4_S4_LNS_25InMemoryDataOperationEnumE0ENS_16TensorDescriptorINS_5TupleIJNS_5EmbedINS7_IJiiEEENS7_IJiNS_17integral_constantIiLi1EEEEEELb0EEENS_11PassThroughIiEESF_EEENS7_IJNS_8SequenceIJLi0EEEENSH_IJLi1EEEENSH_IJLi2EEEEEEENS7_IJNSH_IJLi1ELi2EEEENSH_IJLi3EEEENSH_IJLi4EEEEEEENSH_IJLi3ELi4EEEElEESR_SR_Li1ELi256ELi256ELi256ELi128ELi32ELi8ELi8ELi16ELi16ELi8ELi4ENSH_IJLi4ELi64ELi1EEEENSH_IJLi1ELi0ELi2EEEEST_Li2ELi8ELi8ELb0ELi1ESS_ST_ST_Li2ELi8ELi8ELb0ELi1ELi1ELi1ENSH_IJLi1ELi32ELi1ELi8EEEELi4EEEDF16_DF16_S4_S4_S4_NS6_INS7_IJSD_SF_SF_NS_7UnMergeINS7_IJiNSA_IiLi8EEEEEELb0EEESF_EEENS7_IJSI_SJ_SK_SO_SN_EEENS7_IJSM_SN_SO_NSH_IJLi5ELi6EEEENSH_IJLi7EEEEEEENSH_IJLi5ELi7ELi6EEEElEES16_NS6_INS7_IJSD_SF_SF_NSW_INS7_IJiNSA_IiLi256EEEEEELb0EEENSW_INS7_IJiNSA_IiLi128EEEEEELb0EEEEEENS7_IJSI_SJ_SK_SN_SO_EEENS7_IJSM_SN_SO_S12_NSH_IJLi7ELi8EEEEEEENSH_IJLi5ELi6ELi7ELi8EEEElEENS_13TensorAdaptorINS7_IJNSW_ISC_Lb0EEES1K_NS_23Merge_v2_magic_divisionINS7_IJiiSB_SB_EEEEEEEENS7_IJSI_SJ_NSH_IJLi2ELi3ELi4ELi5EEEEEEENS7_IJNSH_IJLi2ELi4EEEENSH_IJLi3ELi5EEEENSH_IJLi6EEEEEEENSH_IJLi0ELi1EEEES1T_EELb0EEEvPKT0_S1Z_PT1_T2_T3_T4_T5_T6_T7_T8_
	.p2align	8
	.type	_ZN2ck37kernel_gemm_xdl_waveletmodel_cshuffleINS_53GridwiseGemm_k0mk1_k0nk1_mn_xdl_waveletmodel_cshuffleIDF16_fDF16_DF16_NS_16tensor_operation12element_wise11PassThroughES4_S4_LNS_25InMemoryDataOperationEnumE0ENS_16TensorDescriptorINS_5TupleIJNS_5EmbedINS7_IJiiEEENS7_IJiNS_17integral_constantIiLi1EEEEEELb0EEENS_11PassThroughIiEESF_EEENS7_IJNS_8SequenceIJLi0EEEENSH_IJLi1EEEENSH_IJLi2EEEEEEENS7_IJNSH_IJLi1ELi2EEEENSH_IJLi3EEEENSH_IJLi4EEEEEEENSH_IJLi3ELi4EEEElEESR_SR_Li1ELi256ELi256ELi256ELi128ELi32ELi8ELi8ELi16ELi16ELi8ELi4ENSH_IJLi4ELi64ELi1EEEENSH_IJLi1ELi0ELi2EEEEST_Li2ELi8ELi8ELb0ELi1ESS_ST_ST_Li2ELi8ELi8ELb0ELi1ELi1ELi1ENSH_IJLi1ELi32ELi1ELi8EEEELi4EEEDF16_DF16_S4_S4_S4_NS6_INS7_IJSD_SF_SF_NS_7UnMergeINS7_IJiNSA_IiLi8EEEEEELb0EEESF_EEENS7_IJSI_SJ_SK_SO_SN_EEENS7_IJSM_SN_SO_NSH_IJLi5ELi6EEEENSH_IJLi7EEEEEEENSH_IJLi5ELi7ELi6EEEElEES16_NS6_INS7_IJSD_SF_SF_NSW_INS7_IJiNSA_IiLi256EEEEEELb0EEENSW_INS7_IJiNSA_IiLi128EEEEEELb0EEEEEENS7_IJSI_SJ_SK_SN_SO_EEENS7_IJSM_SN_SO_S12_NSH_IJLi7ELi8EEEEEEENSH_IJLi5ELi6ELi7ELi8EEEElEENS_13TensorAdaptorINS7_IJNSW_ISC_Lb0EEES1K_NS_23Merge_v2_magic_divisionINS7_IJiiSB_SB_EEEEEEEENS7_IJSI_SJ_NSH_IJLi2ELi3ELi4ELi5EEEEEEENS7_IJNSH_IJLi2ELi4EEEENSH_IJLi3ELi5EEEENSH_IJLi6EEEEEEENSH_IJLi0ELi1EEEES1T_EELb0EEEvPKT0_S1Z_PT1_T2_T3_T4_T5_T6_T7_T8_,@function
_ZN2ck37kernel_gemm_xdl_waveletmodel_cshuffleINS_53GridwiseGemm_k0mk1_k0nk1_mn_xdl_waveletmodel_cshuffleIDF16_fDF16_DF16_NS_16tensor_operation12element_wise11PassThroughES4_S4_LNS_25InMemoryDataOperationEnumE0ENS_16TensorDescriptorINS_5TupleIJNS_5EmbedINS7_IJiiEEENS7_IJiNS_17integral_constantIiLi1EEEEEELb0EEENS_11PassThroughIiEESF_EEENS7_IJNS_8SequenceIJLi0EEEENSH_IJLi1EEEENSH_IJLi2EEEEEEENS7_IJNSH_IJLi1ELi2EEEENSH_IJLi3EEEENSH_IJLi4EEEEEEENSH_IJLi3ELi4EEEElEESR_SR_Li1ELi256ELi256ELi256ELi128ELi32ELi8ELi8ELi16ELi16ELi8ELi4ENSH_IJLi4ELi64ELi1EEEENSH_IJLi1ELi0ELi2EEEEST_Li2ELi8ELi8ELb0ELi1ESS_ST_ST_Li2ELi8ELi8ELb0ELi1ELi1ELi1ENSH_IJLi1ELi32ELi1ELi8EEEELi4EEEDF16_DF16_S4_S4_S4_NS6_INS7_IJSD_SF_SF_NS_7UnMergeINS7_IJiNSA_IiLi8EEEEEELb0EEESF_EEENS7_IJSI_SJ_SK_SO_SN_EEENS7_IJSM_SN_SO_NSH_IJLi5ELi6EEEENSH_IJLi7EEEEEEENSH_IJLi5ELi7ELi6EEEElEES16_NS6_INS7_IJSD_SF_SF_NSW_INS7_IJiNSA_IiLi256EEEEEELb0EEENSW_INS7_IJiNSA_IiLi128EEEEEELb0EEEEEENS7_IJSI_SJ_SK_SN_SO_EEENS7_IJSM_SN_SO_S12_NSH_IJLi7ELi8EEEEEEENSH_IJLi5ELi6ELi7ELi8EEEElEENS_13TensorAdaptorINS7_IJNSW_ISC_Lb0EEES1K_NS_23Merge_v2_magic_divisionINS7_IJiiSB_SB_EEEEEEEENS7_IJSI_SJ_NSH_IJLi2ELi3ELi4ELi5EEEEEEENS7_IJNSH_IJLi2ELi4EEEENSH_IJLi3ELi5EEEENSH_IJLi6EEEEEEENSH_IJLi0ELi1EEEES1T_EELb0EEEvPKT0_S1Z_PT1_T2_T3_T4_T5_T6_T7_T8_: ; @_ZN2ck37kernel_gemm_xdl_waveletmodel_cshuffleINS_53GridwiseGemm_k0mk1_k0nk1_mn_xdl_waveletmodel_cshuffleIDF16_fDF16_DF16_NS_16tensor_operation12element_wise11PassThroughES4_S4_LNS_25InMemoryDataOperationEnumE0ENS_16TensorDescriptorINS_5TupleIJNS_5EmbedINS7_IJiiEEENS7_IJiNS_17integral_constantIiLi1EEEEEELb0EEENS_11PassThroughIiEESF_EEENS7_IJNS_8SequenceIJLi0EEEENSH_IJLi1EEEENSH_IJLi2EEEEEEENS7_IJNSH_IJLi1ELi2EEEENSH_IJLi3EEEENSH_IJLi4EEEEEEENSH_IJLi3ELi4EEEElEESR_SR_Li1ELi256ELi256ELi256ELi128ELi32ELi8ELi8ELi16ELi16ELi8ELi4ENSH_IJLi4ELi64ELi1EEEENSH_IJLi1ELi0ELi2EEEEST_Li2ELi8ELi8ELb0ELi1ESS_ST_ST_Li2ELi8ELi8ELb0ELi1ELi1ELi1ENSH_IJLi1ELi32ELi1ELi8EEEELi4EEEDF16_DF16_S4_S4_S4_NS6_INS7_IJSD_SF_SF_NS_7UnMergeINS7_IJiNSA_IiLi8EEEEEELb0EEESF_EEENS7_IJSI_SJ_SK_SO_SN_EEENS7_IJSM_SN_SO_NSH_IJLi5ELi6EEEENSH_IJLi7EEEEEEENSH_IJLi5ELi7ELi6EEEElEES16_NS6_INS7_IJSD_SF_SF_NSW_INS7_IJiNSA_IiLi256EEEEEELb0EEENSW_INS7_IJiNSA_IiLi128EEEEEELb0EEEEEENS7_IJSI_SJ_SK_SN_SO_EEENS7_IJSM_SN_SO_S12_NSH_IJLi7ELi8EEEEEEENSH_IJLi5ELi6ELi7ELi8EEEElEENS_13TensorAdaptorINS7_IJNSW_ISC_Lb0EEES1K_NS_23Merge_v2_magic_divisionINS7_IJiiSB_SB_EEEEEEEENS7_IJSI_SJ_NSH_IJLi2ELi3ELi4ELi5EEEEEEENS7_IJNSH_IJLi2ELi4EEEENSH_IJLi3ELi5EEEENSH_IJLi6EEEEEEENSH_IJLi0ELi1EEEES1T_EELb0EEEvPKT0_S1Z_PT1_T2_T3_T4_T5_T6_T7_T8_
; %bb.0:
	s_endpgm
	.section	.rodata,"a",@progbits
	.p2align	6, 0x0
	.amdhsa_kernel _ZN2ck37kernel_gemm_xdl_waveletmodel_cshuffleINS_53GridwiseGemm_k0mk1_k0nk1_mn_xdl_waveletmodel_cshuffleIDF16_fDF16_DF16_NS_16tensor_operation12element_wise11PassThroughES4_S4_LNS_25InMemoryDataOperationEnumE0ENS_16TensorDescriptorINS_5TupleIJNS_5EmbedINS7_IJiiEEENS7_IJiNS_17integral_constantIiLi1EEEEEELb0EEENS_11PassThroughIiEESF_EEENS7_IJNS_8SequenceIJLi0EEEENSH_IJLi1EEEENSH_IJLi2EEEEEEENS7_IJNSH_IJLi1ELi2EEEENSH_IJLi3EEEENSH_IJLi4EEEEEEENSH_IJLi3ELi4EEEElEESR_SR_Li1ELi256ELi256ELi256ELi128ELi32ELi8ELi8ELi16ELi16ELi8ELi4ENSH_IJLi4ELi64ELi1EEEENSH_IJLi1ELi0ELi2EEEEST_Li2ELi8ELi8ELb0ELi1ESS_ST_ST_Li2ELi8ELi8ELb0ELi1ELi1ELi1ENSH_IJLi1ELi32ELi1ELi8EEEELi4EEEDF16_DF16_S4_S4_S4_NS6_INS7_IJSD_SF_SF_NS_7UnMergeINS7_IJiNSA_IiLi8EEEEEELb0EEESF_EEENS7_IJSI_SJ_SK_SO_SN_EEENS7_IJSM_SN_SO_NSH_IJLi5ELi6EEEENSH_IJLi7EEEEEEENSH_IJLi5ELi7ELi6EEEElEES16_NS6_INS7_IJSD_SF_SF_NSW_INS7_IJiNSA_IiLi256EEEEEELb0EEENSW_INS7_IJiNSA_IiLi128EEEEEELb0EEEEEENS7_IJSI_SJ_SK_SN_SO_EEENS7_IJSM_SN_SO_S12_NSH_IJLi7ELi8EEEEEEENSH_IJLi5ELi6ELi7ELi8EEEElEENS_13TensorAdaptorINS7_IJNSW_ISC_Lb0EEES1K_NS_23Merge_v2_magic_divisionINS7_IJiiSB_SB_EEEEEEEENS7_IJSI_SJ_NSH_IJLi2ELi3ELi4ELi5EEEEEEENS7_IJNSH_IJLi2ELi4EEEENSH_IJLi3ELi5EEEENSH_IJLi6EEEEEEENSH_IJLi0ELi1EEEES1T_EELb0EEEvPKT0_S1Z_PT1_T2_T3_T4_T5_T6_T7_T8_
		.amdhsa_group_segment_fixed_size 0
		.amdhsa_private_segment_fixed_size 0
		.amdhsa_kernarg_size 276
		.amdhsa_user_sgpr_count 6
		.amdhsa_user_sgpr_private_segment_buffer 1
		.amdhsa_user_sgpr_dispatch_ptr 0
		.amdhsa_user_sgpr_queue_ptr 0
		.amdhsa_user_sgpr_kernarg_segment_ptr 1
		.amdhsa_user_sgpr_dispatch_id 0
		.amdhsa_user_sgpr_flat_scratch_init 0
		.amdhsa_user_sgpr_private_segment_size 0
		.amdhsa_uses_dynamic_stack 0
		.amdhsa_system_sgpr_private_segment_wavefront_offset 0
		.amdhsa_system_sgpr_workgroup_id_x 1
		.amdhsa_system_sgpr_workgroup_id_y 0
		.amdhsa_system_sgpr_workgroup_id_z 0
		.amdhsa_system_sgpr_workgroup_info 0
		.amdhsa_system_vgpr_workitem_id 0
		.amdhsa_next_free_vgpr 1
		.amdhsa_next_free_sgpr 0
		.amdhsa_reserve_vcc 0
		.amdhsa_reserve_flat_scratch 0
		.amdhsa_float_round_mode_32 0
		.amdhsa_float_round_mode_16_64 0
		.amdhsa_float_denorm_mode_32 3
		.amdhsa_float_denorm_mode_16_64 3
		.amdhsa_dx10_clamp 1
		.amdhsa_ieee_mode 1
		.amdhsa_fp16_overflow 0
		.amdhsa_exception_fp_ieee_invalid_op 0
		.amdhsa_exception_fp_denorm_src 0
		.amdhsa_exception_fp_ieee_div_zero 0
		.amdhsa_exception_fp_ieee_overflow 0
		.amdhsa_exception_fp_ieee_underflow 0
		.amdhsa_exception_fp_ieee_inexact 0
		.amdhsa_exception_int_div_zero 0
	.end_amdhsa_kernel
	.section	.text._ZN2ck37kernel_gemm_xdl_waveletmodel_cshuffleINS_53GridwiseGemm_k0mk1_k0nk1_mn_xdl_waveletmodel_cshuffleIDF16_fDF16_DF16_NS_16tensor_operation12element_wise11PassThroughES4_S4_LNS_25InMemoryDataOperationEnumE0ENS_16TensorDescriptorINS_5TupleIJNS_5EmbedINS7_IJiiEEENS7_IJiNS_17integral_constantIiLi1EEEEEELb0EEENS_11PassThroughIiEESF_EEENS7_IJNS_8SequenceIJLi0EEEENSH_IJLi1EEEENSH_IJLi2EEEEEEENS7_IJNSH_IJLi1ELi2EEEENSH_IJLi3EEEENSH_IJLi4EEEEEEENSH_IJLi3ELi4EEEElEESR_SR_Li1ELi256ELi256ELi256ELi128ELi32ELi8ELi8ELi16ELi16ELi8ELi4ENSH_IJLi4ELi64ELi1EEEENSH_IJLi1ELi0ELi2EEEEST_Li2ELi8ELi8ELb0ELi1ESS_ST_ST_Li2ELi8ELi8ELb0ELi1ELi1ELi1ENSH_IJLi1ELi32ELi1ELi8EEEELi4EEEDF16_DF16_S4_S4_S4_NS6_INS7_IJSD_SF_SF_NS_7UnMergeINS7_IJiNSA_IiLi8EEEEEELb0EEESF_EEENS7_IJSI_SJ_SK_SO_SN_EEENS7_IJSM_SN_SO_NSH_IJLi5ELi6EEEENSH_IJLi7EEEEEEENSH_IJLi5ELi7ELi6EEEElEES16_NS6_INS7_IJSD_SF_SF_NSW_INS7_IJiNSA_IiLi256EEEEEELb0EEENSW_INS7_IJiNSA_IiLi128EEEEEELb0EEEEEENS7_IJSI_SJ_SK_SN_SO_EEENS7_IJSM_SN_SO_S12_NSH_IJLi7ELi8EEEEEEENSH_IJLi5ELi6ELi7ELi8EEEElEENS_13TensorAdaptorINS7_IJNSW_ISC_Lb0EEES1K_NS_23Merge_v2_magic_divisionINS7_IJiiSB_SB_EEEEEEEENS7_IJSI_SJ_NSH_IJLi2ELi3ELi4ELi5EEEEEEENS7_IJNSH_IJLi2ELi4EEEENSH_IJLi3ELi5EEEENSH_IJLi6EEEEEEENSH_IJLi0ELi1EEEES1T_EELb0EEEvPKT0_S1Z_PT1_T2_T3_T4_T5_T6_T7_T8_,"axG",@progbits,_ZN2ck37kernel_gemm_xdl_waveletmodel_cshuffleINS_53GridwiseGemm_k0mk1_k0nk1_mn_xdl_waveletmodel_cshuffleIDF16_fDF16_DF16_NS_16tensor_operation12element_wise11PassThroughES4_S4_LNS_25InMemoryDataOperationEnumE0ENS_16TensorDescriptorINS_5TupleIJNS_5EmbedINS7_IJiiEEENS7_IJiNS_17integral_constantIiLi1EEEEEELb0EEENS_11PassThroughIiEESF_EEENS7_IJNS_8SequenceIJLi0EEEENSH_IJLi1EEEENSH_IJLi2EEEEEEENS7_IJNSH_IJLi1ELi2EEEENSH_IJLi3EEEENSH_IJLi4EEEEEEENSH_IJLi3ELi4EEEElEESR_SR_Li1ELi256ELi256ELi256ELi128ELi32ELi8ELi8ELi16ELi16ELi8ELi4ENSH_IJLi4ELi64ELi1EEEENSH_IJLi1ELi0ELi2EEEEST_Li2ELi8ELi8ELb0ELi1ESS_ST_ST_Li2ELi8ELi8ELb0ELi1ELi1ELi1ENSH_IJLi1ELi32ELi1ELi8EEEELi4EEEDF16_DF16_S4_S4_S4_NS6_INS7_IJSD_SF_SF_NS_7UnMergeINS7_IJiNSA_IiLi8EEEEEELb0EEESF_EEENS7_IJSI_SJ_SK_SO_SN_EEENS7_IJSM_SN_SO_NSH_IJLi5ELi6EEEENSH_IJLi7EEEEEEENSH_IJLi5ELi7ELi6EEEElEES16_NS6_INS7_IJSD_SF_SF_NSW_INS7_IJiNSA_IiLi256EEEEEELb0EEENSW_INS7_IJiNSA_IiLi128EEEEEELb0EEEEEENS7_IJSI_SJ_SK_SN_SO_EEENS7_IJSM_SN_SO_S12_NSH_IJLi7ELi8EEEEEEENSH_IJLi5ELi6ELi7ELi8EEEElEENS_13TensorAdaptorINS7_IJNSW_ISC_Lb0EEES1K_NS_23Merge_v2_magic_divisionINS7_IJiiSB_SB_EEEEEEEENS7_IJSI_SJ_NSH_IJLi2ELi3ELi4ELi5EEEEEEENS7_IJNSH_IJLi2ELi4EEEENSH_IJLi3ELi5EEEENSH_IJLi6EEEEEEENSH_IJLi0ELi1EEEES1T_EELb0EEEvPKT0_S1Z_PT1_T2_T3_T4_T5_T6_T7_T8_,comdat
.Lfunc_end2:
	.size	_ZN2ck37kernel_gemm_xdl_waveletmodel_cshuffleINS_53GridwiseGemm_k0mk1_k0nk1_mn_xdl_waveletmodel_cshuffleIDF16_fDF16_DF16_NS_16tensor_operation12element_wise11PassThroughES4_S4_LNS_25InMemoryDataOperationEnumE0ENS_16TensorDescriptorINS_5TupleIJNS_5EmbedINS7_IJiiEEENS7_IJiNS_17integral_constantIiLi1EEEEEELb0EEENS_11PassThroughIiEESF_EEENS7_IJNS_8SequenceIJLi0EEEENSH_IJLi1EEEENSH_IJLi2EEEEEEENS7_IJNSH_IJLi1ELi2EEEENSH_IJLi3EEEENSH_IJLi4EEEEEEENSH_IJLi3ELi4EEEElEESR_SR_Li1ELi256ELi256ELi256ELi128ELi32ELi8ELi8ELi16ELi16ELi8ELi4ENSH_IJLi4ELi64ELi1EEEENSH_IJLi1ELi0ELi2EEEEST_Li2ELi8ELi8ELb0ELi1ESS_ST_ST_Li2ELi8ELi8ELb0ELi1ELi1ELi1ENSH_IJLi1ELi32ELi1ELi8EEEELi4EEEDF16_DF16_S4_S4_S4_NS6_INS7_IJSD_SF_SF_NS_7UnMergeINS7_IJiNSA_IiLi8EEEEEELb0EEESF_EEENS7_IJSI_SJ_SK_SO_SN_EEENS7_IJSM_SN_SO_NSH_IJLi5ELi6EEEENSH_IJLi7EEEEEEENSH_IJLi5ELi7ELi6EEEElEES16_NS6_INS7_IJSD_SF_SF_NSW_INS7_IJiNSA_IiLi256EEEEEELb0EEENSW_INS7_IJiNSA_IiLi128EEEEEELb0EEEEEENS7_IJSI_SJ_SK_SN_SO_EEENS7_IJSM_SN_SO_S12_NSH_IJLi7ELi8EEEEEEENSH_IJLi5ELi6ELi7ELi8EEEElEENS_13TensorAdaptorINS7_IJNSW_ISC_Lb0EEES1K_NS_23Merge_v2_magic_divisionINS7_IJiiSB_SB_EEEEEEEENS7_IJSI_SJ_NSH_IJLi2ELi3ELi4ELi5EEEEEEENS7_IJNSH_IJLi2ELi4EEEENSH_IJLi3ELi5EEEENSH_IJLi6EEEEEEENSH_IJLi0ELi1EEEES1T_EELb0EEEvPKT0_S1Z_PT1_T2_T3_T4_T5_T6_T7_T8_, .Lfunc_end2-_ZN2ck37kernel_gemm_xdl_waveletmodel_cshuffleINS_53GridwiseGemm_k0mk1_k0nk1_mn_xdl_waveletmodel_cshuffleIDF16_fDF16_DF16_NS_16tensor_operation12element_wise11PassThroughES4_S4_LNS_25InMemoryDataOperationEnumE0ENS_16TensorDescriptorINS_5TupleIJNS_5EmbedINS7_IJiiEEENS7_IJiNS_17integral_constantIiLi1EEEEEELb0EEENS_11PassThroughIiEESF_EEENS7_IJNS_8SequenceIJLi0EEEENSH_IJLi1EEEENSH_IJLi2EEEEEEENS7_IJNSH_IJLi1ELi2EEEENSH_IJLi3EEEENSH_IJLi4EEEEEEENSH_IJLi3ELi4EEEElEESR_SR_Li1ELi256ELi256ELi256ELi128ELi32ELi8ELi8ELi16ELi16ELi8ELi4ENSH_IJLi4ELi64ELi1EEEENSH_IJLi1ELi0ELi2EEEEST_Li2ELi8ELi8ELb0ELi1ESS_ST_ST_Li2ELi8ELi8ELb0ELi1ELi1ELi1ENSH_IJLi1ELi32ELi1ELi8EEEELi4EEEDF16_DF16_S4_S4_S4_NS6_INS7_IJSD_SF_SF_NS_7UnMergeINS7_IJiNSA_IiLi8EEEEEELb0EEESF_EEENS7_IJSI_SJ_SK_SO_SN_EEENS7_IJSM_SN_SO_NSH_IJLi5ELi6EEEENSH_IJLi7EEEEEEENSH_IJLi5ELi7ELi6EEEElEES16_NS6_INS7_IJSD_SF_SF_NSW_INS7_IJiNSA_IiLi256EEEEEELb0EEENSW_INS7_IJiNSA_IiLi128EEEEEELb0EEEEEENS7_IJSI_SJ_SK_SN_SO_EEENS7_IJSM_SN_SO_S12_NSH_IJLi7ELi8EEEEEEENSH_IJLi5ELi6ELi7ELi8EEEElEENS_13TensorAdaptorINS7_IJNSW_ISC_Lb0EEES1K_NS_23Merge_v2_magic_divisionINS7_IJiiSB_SB_EEEEEEEENS7_IJSI_SJ_NSH_IJLi2ELi3ELi4ELi5EEEEEEENS7_IJNSH_IJLi2ELi4EEEENSH_IJLi3ELi5EEEENSH_IJLi6EEEEEEENSH_IJLi0ELi1EEEES1T_EELb0EEEvPKT0_S1Z_PT1_T2_T3_T4_T5_T6_T7_T8_
                                        ; -- End function
	.set _ZN2ck37kernel_gemm_xdl_waveletmodel_cshuffleINS_53GridwiseGemm_k0mk1_k0nk1_mn_xdl_waveletmodel_cshuffleIDF16_fDF16_DF16_NS_16tensor_operation12element_wise11PassThroughES4_S4_LNS_25InMemoryDataOperationEnumE0ENS_16TensorDescriptorINS_5TupleIJNS_5EmbedINS7_IJiiEEENS7_IJiNS_17integral_constantIiLi1EEEEEELb0EEENS_11PassThroughIiEESF_EEENS7_IJNS_8SequenceIJLi0EEEENSH_IJLi1EEEENSH_IJLi2EEEEEEENS7_IJNSH_IJLi1ELi2EEEENSH_IJLi3EEEENSH_IJLi4EEEEEEENSH_IJLi3ELi4EEEElEESR_SR_Li1ELi256ELi256ELi256ELi128ELi32ELi8ELi8ELi16ELi16ELi8ELi4ENSH_IJLi4ELi64ELi1EEEENSH_IJLi1ELi0ELi2EEEEST_Li2ELi8ELi8ELb0ELi1ESS_ST_ST_Li2ELi8ELi8ELb0ELi1ELi1ELi1ENSH_IJLi1ELi32ELi1ELi8EEEELi4EEEDF16_DF16_S4_S4_S4_NS6_INS7_IJSD_SF_SF_NS_7UnMergeINS7_IJiNSA_IiLi8EEEEEELb0EEESF_EEENS7_IJSI_SJ_SK_SO_SN_EEENS7_IJSM_SN_SO_NSH_IJLi5ELi6EEEENSH_IJLi7EEEEEEENSH_IJLi5ELi7ELi6EEEElEES16_NS6_INS7_IJSD_SF_SF_NSW_INS7_IJiNSA_IiLi256EEEEEELb0EEENSW_INS7_IJiNSA_IiLi128EEEEEELb0EEEEEENS7_IJSI_SJ_SK_SN_SO_EEENS7_IJSM_SN_SO_S12_NSH_IJLi7ELi8EEEEEEENSH_IJLi5ELi6ELi7ELi8EEEElEENS_13TensorAdaptorINS7_IJNSW_ISC_Lb0EEES1K_NS_23Merge_v2_magic_divisionINS7_IJiiSB_SB_EEEEEEEENS7_IJSI_SJ_NSH_IJLi2ELi3ELi4ELi5EEEEEEENS7_IJNSH_IJLi2ELi4EEEENSH_IJLi3ELi5EEEENSH_IJLi6EEEEEEENSH_IJLi0ELi1EEEES1T_EELb0EEEvPKT0_S1Z_PT1_T2_T3_T4_T5_T6_T7_T8_.num_vgpr, 0
	.set _ZN2ck37kernel_gemm_xdl_waveletmodel_cshuffleINS_53GridwiseGemm_k0mk1_k0nk1_mn_xdl_waveletmodel_cshuffleIDF16_fDF16_DF16_NS_16tensor_operation12element_wise11PassThroughES4_S4_LNS_25InMemoryDataOperationEnumE0ENS_16TensorDescriptorINS_5TupleIJNS_5EmbedINS7_IJiiEEENS7_IJiNS_17integral_constantIiLi1EEEEEELb0EEENS_11PassThroughIiEESF_EEENS7_IJNS_8SequenceIJLi0EEEENSH_IJLi1EEEENSH_IJLi2EEEEEEENS7_IJNSH_IJLi1ELi2EEEENSH_IJLi3EEEENSH_IJLi4EEEEEEENSH_IJLi3ELi4EEEElEESR_SR_Li1ELi256ELi256ELi256ELi128ELi32ELi8ELi8ELi16ELi16ELi8ELi4ENSH_IJLi4ELi64ELi1EEEENSH_IJLi1ELi0ELi2EEEEST_Li2ELi8ELi8ELb0ELi1ESS_ST_ST_Li2ELi8ELi8ELb0ELi1ELi1ELi1ENSH_IJLi1ELi32ELi1ELi8EEEELi4EEEDF16_DF16_S4_S4_S4_NS6_INS7_IJSD_SF_SF_NS_7UnMergeINS7_IJiNSA_IiLi8EEEEEELb0EEESF_EEENS7_IJSI_SJ_SK_SO_SN_EEENS7_IJSM_SN_SO_NSH_IJLi5ELi6EEEENSH_IJLi7EEEEEEENSH_IJLi5ELi7ELi6EEEElEES16_NS6_INS7_IJSD_SF_SF_NSW_INS7_IJiNSA_IiLi256EEEEEELb0EEENSW_INS7_IJiNSA_IiLi128EEEEEELb0EEEEEENS7_IJSI_SJ_SK_SN_SO_EEENS7_IJSM_SN_SO_S12_NSH_IJLi7ELi8EEEEEEENSH_IJLi5ELi6ELi7ELi8EEEElEENS_13TensorAdaptorINS7_IJNSW_ISC_Lb0EEES1K_NS_23Merge_v2_magic_divisionINS7_IJiiSB_SB_EEEEEEEENS7_IJSI_SJ_NSH_IJLi2ELi3ELi4ELi5EEEEEEENS7_IJNSH_IJLi2ELi4EEEENSH_IJLi3ELi5EEEENSH_IJLi6EEEEEEENSH_IJLi0ELi1EEEES1T_EELb0EEEvPKT0_S1Z_PT1_T2_T3_T4_T5_T6_T7_T8_.num_agpr, 0
	.set _ZN2ck37kernel_gemm_xdl_waveletmodel_cshuffleINS_53GridwiseGemm_k0mk1_k0nk1_mn_xdl_waveletmodel_cshuffleIDF16_fDF16_DF16_NS_16tensor_operation12element_wise11PassThroughES4_S4_LNS_25InMemoryDataOperationEnumE0ENS_16TensorDescriptorINS_5TupleIJNS_5EmbedINS7_IJiiEEENS7_IJiNS_17integral_constantIiLi1EEEEEELb0EEENS_11PassThroughIiEESF_EEENS7_IJNS_8SequenceIJLi0EEEENSH_IJLi1EEEENSH_IJLi2EEEEEEENS7_IJNSH_IJLi1ELi2EEEENSH_IJLi3EEEENSH_IJLi4EEEEEEENSH_IJLi3ELi4EEEElEESR_SR_Li1ELi256ELi256ELi256ELi128ELi32ELi8ELi8ELi16ELi16ELi8ELi4ENSH_IJLi4ELi64ELi1EEEENSH_IJLi1ELi0ELi2EEEEST_Li2ELi8ELi8ELb0ELi1ESS_ST_ST_Li2ELi8ELi8ELb0ELi1ELi1ELi1ENSH_IJLi1ELi32ELi1ELi8EEEELi4EEEDF16_DF16_S4_S4_S4_NS6_INS7_IJSD_SF_SF_NS_7UnMergeINS7_IJiNSA_IiLi8EEEEEELb0EEESF_EEENS7_IJSI_SJ_SK_SO_SN_EEENS7_IJSM_SN_SO_NSH_IJLi5ELi6EEEENSH_IJLi7EEEEEEENSH_IJLi5ELi7ELi6EEEElEES16_NS6_INS7_IJSD_SF_SF_NSW_INS7_IJiNSA_IiLi256EEEEEELb0EEENSW_INS7_IJiNSA_IiLi128EEEEEELb0EEEEEENS7_IJSI_SJ_SK_SN_SO_EEENS7_IJSM_SN_SO_S12_NSH_IJLi7ELi8EEEEEEENSH_IJLi5ELi6ELi7ELi8EEEElEENS_13TensorAdaptorINS7_IJNSW_ISC_Lb0EEES1K_NS_23Merge_v2_magic_divisionINS7_IJiiSB_SB_EEEEEEEENS7_IJSI_SJ_NSH_IJLi2ELi3ELi4ELi5EEEEEEENS7_IJNSH_IJLi2ELi4EEEENSH_IJLi3ELi5EEEENSH_IJLi6EEEEEEENSH_IJLi0ELi1EEEES1T_EELb0EEEvPKT0_S1Z_PT1_T2_T3_T4_T5_T6_T7_T8_.numbered_sgpr, 0
	.set _ZN2ck37kernel_gemm_xdl_waveletmodel_cshuffleINS_53GridwiseGemm_k0mk1_k0nk1_mn_xdl_waveletmodel_cshuffleIDF16_fDF16_DF16_NS_16tensor_operation12element_wise11PassThroughES4_S4_LNS_25InMemoryDataOperationEnumE0ENS_16TensorDescriptorINS_5TupleIJNS_5EmbedINS7_IJiiEEENS7_IJiNS_17integral_constantIiLi1EEEEEELb0EEENS_11PassThroughIiEESF_EEENS7_IJNS_8SequenceIJLi0EEEENSH_IJLi1EEEENSH_IJLi2EEEEEEENS7_IJNSH_IJLi1ELi2EEEENSH_IJLi3EEEENSH_IJLi4EEEEEEENSH_IJLi3ELi4EEEElEESR_SR_Li1ELi256ELi256ELi256ELi128ELi32ELi8ELi8ELi16ELi16ELi8ELi4ENSH_IJLi4ELi64ELi1EEEENSH_IJLi1ELi0ELi2EEEEST_Li2ELi8ELi8ELb0ELi1ESS_ST_ST_Li2ELi8ELi8ELb0ELi1ELi1ELi1ENSH_IJLi1ELi32ELi1ELi8EEEELi4EEEDF16_DF16_S4_S4_S4_NS6_INS7_IJSD_SF_SF_NS_7UnMergeINS7_IJiNSA_IiLi8EEEEEELb0EEESF_EEENS7_IJSI_SJ_SK_SO_SN_EEENS7_IJSM_SN_SO_NSH_IJLi5ELi6EEEENSH_IJLi7EEEEEEENSH_IJLi5ELi7ELi6EEEElEES16_NS6_INS7_IJSD_SF_SF_NSW_INS7_IJiNSA_IiLi256EEEEEELb0EEENSW_INS7_IJiNSA_IiLi128EEEEEELb0EEEEEENS7_IJSI_SJ_SK_SN_SO_EEENS7_IJSM_SN_SO_S12_NSH_IJLi7ELi8EEEEEEENSH_IJLi5ELi6ELi7ELi8EEEElEENS_13TensorAdaptorINS7_IJNSW_ISC_Lb0EEES1K_NS_23Merge_v2_magic_divisionINS7_IJiiSB_SB_EEEEEEEENS7_IJSI_SJ_NSH_IJLi2ELi3ELi4ELi5EEEEEEENS7_IJNSH_IJLi2ELi4EEEENSH_IJLi3ELi5EEEENSH_IJLi6EEEEEEENSH_IJLi0ELi1EEEES1T_EELb0EEEvPKT0_S1Z_PT1_T2_T3_T4_T5_T6_T7_T8_.num_named_barrier, 0
	.set _ZN2ck37kernel_gemm_xdl_waveletmodel_cshuffleINS_53GridwiseGemm_k0mk1_k0nk1_mn_xdl_waveletmodel_cshuffleIDF16_fDF16_DF16_NS_16tensor_operation12element_wise11PassThroughES4_S4_LNS_25InMemoryDataOperationEnumE0ENS_16TensorDescriptorINS_5TupleIJNS_5EmbedINS7_IJiiEEENS7_IJiNS_17integral_constantIiLi1EEEEEELb0EEENS_11PassThroughIiEESF_EEENS7_IJNS_8SequenceIJLi0EEEENSH_IJLi1EEEENSH_IJLi2EEEEEEENS7_IJNSH_IJLi1ELi2EEEENSH_IJLi3EEEENSH_IJLi4EEEEEEENSH_IJLi3ELi4EEEElEESR_SR_Li1ELi256ELi256ELi256ELi128ELi32ELi8ELi8ELi16ELi16ELi8ELi4ENSH_IJLi4ELi64ELi1EEEENSH_IJLi1ELi0ELi2EEEEST_Li2ELi8ELi8ELb0ELi1ESS_ST_ST_Li2ELi8ELi8ELb0ELi1ELi1ELi1ENSH_IJLi1ELi32ELi1ELi8EEEELi4EEEDF16_DF16_S4_S4_S4_NS6_INS7_IJSD_SF_SF_NS_7UnMergeINS7_IJiNSA_IiLi8EEEEEELb0EEESF_EEENS7_IJSI_SJ_SK_SO_SN_EEENS7_IJSM_SN_SO_NSH_IJLi5ELi6EEEENSH_IJLi7EEEEEEENSH_IJLi5ELi7ELi6EEEElEES16_NS6_INS7_IJSD_SF_SF_NSW_INS7_IJiNSA_IiLi256EEEEEELb0EEENSW_INS7_IJiNSA_IiLi128EEEEEELb0EEEEEENS7_IJSI_SJ_SK_SN_SO_EEENS7_IJSM_SN_SO_S12_NSH_IJLi7ELi8EEEEEEENSH_IJLi5ELi6ELi7ELi8EEEElEENS_13TensorAdaptorINS7_IJNSW_ISC_Lb0EEES1K_NS_23Merge_v2_magic_divisionINS7_IJiiSB_SB_EEEEEEEENS7_IJSI_SJ_NSH_IJLi2ELi3ELi4ELi5EEEEEEENS7_IJNSH_IJLi2ELi4EEEENSH_IJLi3ELi5EEEENSH_IJLi6EEEEEEENSH_IJLi0ELi1EEEES1T_EELb0EEEvPKT0_S1Z_PT1_T2_T3_T4_T5_T6_T7_T8_.private_seg_size, 0
	.set _ZN2ck37kernel_gemm_xdl_waveletmodel_cshuffleINS_53GridwiseGemm_k0mk1_k0nk1_mn_xdl_waveletmodel_cshuffleIDF16_fDF16_DF16_NS_16tensor_operation12element_wise11PassThroughES4_S4_LNS_25InMemoryDataOperationEnumE0ENS_16TensorDescriptorINS_5TupleIJNS_5EmbedINS7_IJiiEEENS7_IJiNS_17integral_constantIiLi1EEEEEELb0EEENS_11PassThroughIiEESF_EEENS7_IJNS_8SequenceIJLi0EEEENSH_IJLi1EEEENSH_IJLi2EEEEEEENS7_IJNSH_IJLi1ELi2EEEENSH_IJLi3EEEENSH_IJLi4EEEEEEENSH_IJLi3ELi4EEEElEESR_SR_Li1ELi256ELi256ELi256ELi128ELi32ELi8ELi8ELi16ELi16ELi8ELi4ENSH_IJLi4ELi64ELi1EEEENSH_IJLi1ELi0ELi2EEEEST_Li2ELi8ELi8ELb0ELi1ESS_ST_ST_Li2ELi8ELi8ELb0ELi1ELi1ELi1ENSH_IJLi1ELi32ELi1ELi8EEEELi4EEEDF16_DF16_S4_S4_S4_NS6_INS7_IJSD_SF_SF_NS_7UnMergeINS7_IJiNSA_IiLi8EEEEEELb0EEESF_EEENS7_IJSI_SJ_SK_SO_SN_EEENS7_IJSM_SN_SO_NSH_IJLi5ELi6EEEENSH_IJLi7EEEEEEENSH_IJLi5ELi7ELi6EEEElEES16_NS6_INS7_IJSD_SF_SF_NSW_INS7_IJiNSA_IiLi256EEEEEELb0EEENSW_INS7_IJiNSA_IiLi128EEEEEELb0EEEEEENS7_IJSI_SJ_SK_SN_SO_EEENS7_IJSM_SN_SO_S12_NSH_IJLi7ELi8EEEEEEENSH_IJLi5ELi6ELi7ELi8EEEElEENS_13TensorAdaptorINS7_IJNSW_ISC_Lb0EEES1K_NS_23Merge_v2_magic_divisionINS7_IJiiSB_SB_EEEEEEEENS7_IJSI_SJ_NSH_IJLi2ELi3ELi4ELi5EEEEEEENS7_IJNSH_IJLi2ELi4EEEENSH_IJLi3ELi5EEEENSH_IJLi6EEEEEEENSH_IJLi0ELi1EEEES1T_EELb0EEEvPKT0_S1Z_PT1_T2_T3_T4_T5_T6_T7_T8_.uses_vcc, 0
	.set _ZN2ck37kernel_gemm_xdl_waveletmodel_cshuffleINS_53GridwiseGemm_k0mk1_k0nk1_mn_xdl_waveletmodel_cshuffleIDF16_fDF16_DF16_NS_16tensor_operation12element_wise11PassThroughES4_S4_LNS_25InMemoryDataOperationEnumE0ENS_16TensorDescriptorINS_5TupleIJNS_5EmbedINS7_IJiiEEENS7_IJiNS_17integral_constantIiLi1EEEEEELb0EEENS_11PassThroughIiEESF_EEENS7_IJNS_8SequenceIJLi0EEEENSH_IJLi1EEEENSH_IJLi2EEEEEEENS7_IJNSH_IJLi1ELi2EEEENSH_IJLi3EEEENSH_IJLi4EEEEEEENSH_IJLi3ELi4EEEElEESR_SR_Li1ELi256ELi256ELi256ELi128ELi32ELi8ELi8ELi16ELi16ELi8ELi4ENSH_IJLi4ELi64ELi1EEEENSH_IJLi1ELi0ELi2EEEEST_Li2ELi8ELi8ELb0ELi1ESS_ST_ST_Li2ELi8ELi8ELb0ELi1ELi1ELi1ENSH_IJLi1ELi32ELi1ELi8EEEELi4EEEDF16_DF16_S4_S4_S4_NS6_INS7_IJSD_SF_SF_NS_7UnMergeINS7_IJiNSA_IiLi8EEEEEELb0EEESF_EEENS7_IJSI_SJ_SK_SO_SN_EEENS7_IJSM_SN_SO_NSH_IJLi5ELi6EEEENSH_IJLi7EEEEEEENSH_IJLi5ELi7ELi6EEEElEES16_NS6_INS7_IJSD_SF_SF_NSW_INS7_IJiNSA_IiLi256EEEEEELb0EEENSW_INS7_IJiNSA_IiLi128EEEEEELb0EEEEEENS7_IJSI_SJ_SK_SN_SO_EEENS7_IJSM_SN_SO_S12_NSH_IJLi7ELi8EEEEEEENSH_IJLi5ELi6ELi7ELi8EEEElEENS_13TensorAdaptorINS7_IJNSW_ISC_Lb0EEES1K_NS_23Merge_v2_magic_divisionINS7_IJiiSB_SB_EEEEEEEENS7_IJSI_SJ_NSH_IJLi2ELi3ELi4ELi5EEEEEEENS7_IJNSH_IJLi2ELi4EEEENSH_IJLi3ELi5EEEENSH_IJLi6EEEEEEENSH_IJLi0ELi1EEEES1T_EELb0EEEvPKT0_S1Z_PT1_T2_T3_T4_T5_T6_T7_T8_.uses_flat_scratch, 0
	.set _ZN2ck37kernel_gemm_xdl_waveletmodel_cshuffleINS_53GridwiseGemm_k0mk1_k0nk1_mn_xdl_waveletmodel_cshuffleIDF16_fDF16_DF16_NS_16tensor_operation12element_wise11PassThroughES4_S4_LNS_25InMemoryDataOperationEnumE0ENS_16TensorDescriptorINS_5TupleIJNS_5EmbedINS7_IJiiEEENS7_IJiNS_17integral_constantIiLi1EEEEEELb0EEENS_11PassThroughIiEESF_EEENS7_IJNS_8SequenceIJLi0EEEENSH_IJLi1EEEENSH_IJLi2EEEEEEENS7_IJNSH_IJLi1ELi2EEEENSH_IJLi3EEEENSH_IJLi4EEEEEEENSH_IJLi3ELi4EEEElEESR_SR_Li1ELi256ELi256ELi256ELi128ELi32ELi8ELi8ELi16ELi16ELi8ELi4ENSH_IJLi4ELi64ELi1EEEENSH_IJLi1ELi0ELi2EEEEST_Li2ELi8ELi8ELb0ELi1ESS_ST_ST_Li2ELi8ELi8ELb0ELi1ELi1ELi1ENSH_IJLi1ELi32ELi1ELi8EEEELi4EEEDF16_DF16_S4_S4_S4_NS6_INS7_IJSD_SF_SF_NS_7UnMergeINS7_IJiNSA_IiLi8EEEEEELb0EEESF_EEENS7_IJSI_SJ_SK_SO_SN_EEENS7_IJSM_SN_SO_NSH_IJLi5ELi6EEEENSH_IJLi7EEEEEEENSH_IJLi5ELi7ELi6EEEElEES16_NS6_INS7_IJSD_SF_SF_NSW_INS7_IJiNSA_IiLi256EEEEEELb0EEENSW_INS7_IJiNSA_IiLi128EEEEEELb0EEEEEENS7_IJSI_SJ_SK_SN_SO_EEENS7_IJSM_SN_SO_S12_NSH_IJLi7ELi8EEEEEEENSH_IJLi5ELi6ELi7ELi8EEEElEENS_13TensorAdaptorINS7_IJNSW_ISC_Lb0EEES1K_NS_23Merge_v2_magic_divisionINS7_IJiiSB_SB_EEEEEEEENS7_IJSI_SJ_NSH_IJLi2ELi3ELi4ELi5EEEEEEENS7_IJNSH_IJLi2ELi4EEEENSH_IJLi3ELi5EEEENSH_IJLi6EEEEEEENSH_IJLi0ELi1EEEES1T_EELb0EEEvPKT0_S1Z_PT1_T2_T3_T4_T5_T6_T7_T8_.has_dyn_sized_stack, 0
	.set _ZN2ck37kernel_gemm_xdl_waveletmodel_cshuffleINS_53GridwiseGemm_k0mk1_k0nk1_mn_xdl_waveletmodel_cshuffleIDF16_fDF16_DF16_NS_16tensor_operation12element_wise11PassThroughES4_S4_LNS_25InMemoryDataOperationEnumE0ENS_16TensorDescriptorINS_5TupleIJNS_5EmbedINS7_IJiiEEENS7_IJiNS_17integral_constantIiLi1EEEEEELb0EEENS_11PassThroughIiEESF_EEENS7_IJNS_8SequenceIJLi0EEEENSH_IJLi1EEEENSH_IJLi2EEEEEEENS7_IJNSH_IJLi1ELi2EEEENSH_IJLi3EEEENSH_IJLi4EEEEEEENSH_IJLi3ELi4EEEElEESR_SR_Li1ELi256ELi256ELi256ELi128ELi32ELi8ELi8ELi16ELi16ELi8ELi4ENSH_IJLi4ELi64ELi1EEEENSH_IJLi1ELi0ELi2EEEEST_Li2ELi8ELi8ELb0ELi1ESS_ST_ST_Li2ELi8ELi8ELb0ELi1ELi1ELi1ENSH_IJLi1ELi32ELi1ELi8EEEELi4EEEDF16_DF16_S4_S4_S4_NS6_INS7_IJSD_SF_SF_NS_7UnMergeINS7_IJiNSA_IiLi8EEEEEELb0EEESF_EEENS7_IJSI_SJ_SK_SO_SN_EEENS7_IJSM_SN_SO_NSH_IJLi5ELi6EEEENSH_IJLi7EEEEEEENSH_IJLi5ELi7ELi6EEEElEES16_NS6_INS7_IJSD_SF_SF_NSW_INS7_IJiNSA_IiLi256EEEEEELb0EEENSW_INS7_IJiNSA_IiLi128EEEEEELb0EEEEEENS7_IJSI_SJ_SK_SN_SO_EEENS7_IJSM_SN_SO_S12_NSH_IJLi7ELi8EEEEEEENSH_IJLi5ELi6ELi7ELi8EEEElEENS_13TensorAdaptorINS7_IJNSW_ISC_Lb0EEES1K_NS_23Merge_v2_magic_divisionINS7_IJiiSB_SB_EEEEEEEENS7_IJSI_SJ_NSH_IJLi2ELi3ELi4ELi5EEEEEEENS7_IJNSH_IJLi2ELi4EEEENSH_IJLi3ELi5EEEENSH_IJLi6EEEEEEENSH_IJLi0ELi1EEEES1T_EELb0EEEvPKT0_S1Z_PT1_T2_T3_T4_T5_T6_T7_T8_.has_recursion, 0
	.set _ZN2ck37kernel_gemm_xdl_waveletmodel_cshuffleINS_53GridwiseGemm_k0mk1_k0nk1_mn_xdl_waveletmodel_cshuffleIDF16_fDF16_DF16_NS_16tensor_operation12element_wise11PassThroughES4_S4_LNS_25InMemoryDataOperationEnumE0ENS_16TensorDescriptorINS_5TupleIJNS_5EmbedINS7_IJiiEEENS7_IJiNS_17integral_constantIiLi1EEEEEELb0EEENS_11PassThroughIiEESF_EEENS7_IJNS_8SequenceIJLi0EEEENSH_IJLi1EEEENSH_IJLi2EEEEEEENS7_IJNSH_IJLi1ELi2EEEENSH_IJLi3EEEENSH_IJLi4EEEEEEENSH_IJLi3ELi4EEEElEESR_SR_Li1ELi256ELi256ELi256ELi128ELi32ELi8ELi8ELi16ELi16ELi8ELi4ENSH_IJLi4ELi64ELi1EEEENSH_IJLi1ELi0ELi2EEEEST_Li2ELi8ELi8ELb0ELi1ESS_ST_ST_Li2ELi8ELi8ELb0ELi1ELi1ELi1ENSH_IJLi1ELi32ELi1ELi8EEEELi4EEEDF16_DF16_S4_S4_S4_NS6_INS7_IJSD_SF_SF_NS_7UnMergeINS7_IJiNSA_IiLi8EEEEEELb0EEESF_EEENS7_IJSI_SJ_SK_SO_SN_EEENS7_IJSM_SN_SO_NSH_IJLi5ELi6EEEENSH_IJLi7EEEEEEENSH_IJLi5ELi7ELi6EEEElEES16_NS6_INS7_IJSD_SF_SF_NSW_INS7_IJiNSA_IiLi256EEEEEELb0EEENSW_INS7_IJiNSA_IiLi128EEEEEELb0EEEEEENS7_IJSI_SJ_SK_SN_SO_EEENS7_IJSM_SN_SO_S12_NSH_IJLi7ELi8EEEEEEENSH_IJLi5ELi6ELi7ELi8EEEElEENS_13TensorAdaptorINS7_IJNSW_ISC_Lb0EEES1K_NS_23Merge_v2_magic_divisionINS7_IJiiSB_SB_EEEEEEEENS7_IJSI_SJ_NSH_IJLi2ELi3ELi4ELi5EEEEEEENS7_IJNSH_IJLi2ELi4EEEENSH_IJLi3ELi5EEEENSH_IJLi6EEEEEEENSH_IJLi0ELi1EEEES1T_EELb0EEEvPKT0_S1Z_PT1_T2_T3_T4_T5_T6_T7_T8_.has_indirect_call, 0
	.section	.AMDGPU.csdata,"",@progbits
; Kernel info:
; codeLenInByte = 4
; TotalNumSgprs: 4
; NumVgprs: 0
; ScratchSize: 0
; MemoryBound: 0
; FloatMode: 240
; IeeeMode: 1
; LDSByteSize: 0 bytes/workgroup (compile time only)
; SGPRBlocks: 0
; VGPRBlocks: 0
; NumSGPRsForWavesPerEU: 4
; NumVGPRsForWavesPerEU: 1
; Occupancy: 10
; WaveLimiterHint : 0
; COMPUTE_PGM_RSRC2:SCRATCH_EN: 0
; COMPUTE_PGM_RSRC2:USER_SGPR: 6
; COMPUTE_PGM_RSRC2:TRAP_HANDLER: 0
; COMPUTE_PGM_RSRC2:TGID_X_EN: 1
; COMPUTE_PGM_RSRC2:TGID_Y_EN: 0
; COMPUTE_PGM_RSRC2:TGID_Z_EN: 0
; COMPUTE_PGM_RSRC2:TIDIG_COMP_CNT: 0
	.section	.text._ZN2ck37kernel_gemm_xdl_waveletmodel_cshuffleINS_53GridwiseGemm_k0mk1_k0nk1_mn_xdl_waveletmodel_cshuffleIDF16_fDF16_DF16_NS_16tensor_operation12element_wise11PassThroughES4_S4_LNS_25InMemoryDataOperationEnumE0ENS_16TensorDescriptorINS_5TupleIJNS_5EmbedINS7_IJiiEEENS7_IJiNS_17integral_constantIiLi1EEEEEELb0EEENS_11PassThroughIiEESF_EEENS7_IJNS_8SequenceIJLi0EEEENSH_IJLi1EEEENSH_IJLi2EEEEEEENS7_IJNSH_IJLi1ELi2EEEENSH_IJLi3EEEENSH_IJLi4EEEEEEENSH_IJLi3ELi4EEEElEESR_SR_Li1ELi256ELi256ELi256ELi128ELi32ELi8ELi8ELi16ELi16ELi8ELi2ENSH_IJLi4ELi64ELi1EEEENSH_IJLi1ELi0ELi2EEEEST_Li2ELi8ELi8ELb0ELi1ESS_ST_ST_Li2ELi8ELi8ELb0ELi1ELi1ELi1ENSH_IJLi1ELi32ELi1ELi8EEEELi4EEEDF16_DF16_S4_S4_S4_NS6_INS7_IJSD_SF_SF_NS_7UnMergeINS7_IJiNSA_IiLi8EEEEEELb0EEESF_EEENS7_IJSI_SJ_SK_SO_SN_EEENS7_IJSM_SN_SO_NSH_IJLi5ELi6EEEENSH_IJLi7EEEEEEENSH_IJLi5ELi7ELi6EEEElEES16_NS6_INS7_IJSD_SF_SF_NSW_INS7_IJiNSA_IiLi256EEEEEELb0EEENSW_INS7_IJiNSA_IiLi128EEEEEELb0EEEEEENS7_IJSI_SJ_SK_SN_SO_EEENS7_IJSM_SN_SO_S12_NSH_IJLi7ELi8EEEEEEENSH_IJLi5ELi6ELi7ELi8EEEElEENS_13TensorAdaptorINS7_IJNSW_ISC_Lb0EEES1K_NS_23Merge_v2_magic_divisionINS7_IJiiSB_SB_EEEEEEEENS7_IJSI_SJ_NSH_IJLi2ELi3ELi4ELi5EEEEEEENS7_IJNSH_IJLi2ELi4EEEENSH_IJLi3ELi5EEEENSH_IJLi6EEEEEEENSH_IJLi0ELi1EEEES1T_EELb1EEEvPKT0_S1Z_PT1_T2_T3_T4_T5_T6_T7_T8_,"axG",@progbits,_ZN2ck37kernel_gemm_xdl_waveletmodel_cshuffleINS_53GridwiseGemm_k0mk1_k0nk1_mn_xdl_waveletmodel_cshuffleIDF16_fDF16_DF16_NS_16tensor_operation12element_wise11PassThroughES4_S4_LNS_25InMemoryDataOperationEnumE0ENS_16TensorDescriptorINS_5TupleIJNS_5EmbedINS7_IJiiEEENS7_IJiNS_17integral_constantIiLi1EEEEEELb0EEENS_11PassThroughIiEESF_EEENS7_IJNS_8SequenceIJLi0EEEENSH_IJLi1EEEENSH_IJLi2EEEEEEENS7_IJNSH_IJLi1ELi2EEEENSH_IJLi3EEEENSH_IJLi4EEEEEEENSH_IJLi3ELi4EEEElEESR_SR_Li1ELi256ELi256ELi256ELi128ELi32ELi8ELi8ELi16ELi16ELi8ELi2ENSH_IJLi4ELi64ELi1EEEENSH_IJLi1ELi0ELi2EEEEST_Li2ELi8ELi8ELb0ELi1ESS_ST_ST_Li2ELi8ELi8ELb0ELi1ELi1ELi1ENSH_IJLi1ELi32ELi1ELi8EEEELi4EEEDF16_DF16_S4_S4_S4_NS6_INS7_IJSD_SF_SF_NS_7UnMergeINS7_IJiNSA_IiLi8EEEEEELb0EEESF_EEENS7_IJSI_SJ_SK_SO_SN_EEENS7_IJSM_SN_SO_NSH_IJLi5ELi6EEEENSH_IJLi7EEEEEEENSH_IJLi5ELi7ELi6EEEElEES16_NS6_INS7_IJSD_SF_SF_NSW_INS7_IJiNSA_IiLi256EEEEEELb0EEENSW_INS7_IJiNSA_IiLi128EEEEEELb0EEEEEENS7_IJSI_SJ_SK_SN_SO_EEENS7_IJSM_SN_SO_S12_NSH_IJLi7ELi8EEEEEEENSH_IJLi5ELi6ELi7ELi8EEEElEENS_13TensorAdaptorINS7_IJNSW_ISC_Lb0EEES1K_NS_23Merge_v2_magic_divisionINS7_IJiiSB_SB_EEEEEEEENS7_IJSI_SJ_NSH_IJLi2ELi3ELi4ELi5EEEEEEENS7_IJNSH_IJLi2ELi4EEEENSH_IJLi3ELi5EEEENSH_IJLi6EEEEEEENSH_IJLi0ELi1EEEES1T_EELb1EEEvPKT0_S1Z_PT1_T2_T3_T4_T5_T6_T7_T8_,comdat
	.protected	_ZN2ck37kernel_gemm_xdl_waveletmodel_cshuffleINS_53GridwiseGemm_k0mk1_k0nk1_mn_xdl_waveletmodel_cshuffleIDF16_fDF16_DF16_NS_16tensor_operation12element_wise11PassThroughES4_S4_LNS_25InMemoryDataOperationEnumE0ENS_16TensorDescriptorINS_5TupleIJNS_5EmbedINS7_IJiiEEENS7_IJiNS_17integral_constantIiLi1EEEEEELb0EEENS_11PassThroughIiEESF_EEENS7_IJNS_8SequenceIJLi0EEEENSH_IJLi1EEEENSH_IJLi2EEEEEEENS7_IJNSH_IJLi1ELi2EEEENSH_IJLi3EEEENSH_IJLi4EEEEEEENSH_IJLi3ELi4EEEElEESR_SR_Li1ELi256ELi256ELi256ELi128ELi32ELi8ELi8ELi16ELi16ELi8ELi2ENSH_IJLi4ELi64ELi1EEEENSH_IJLi1ELi0ELi2EEEEST_Li2ELi8ELi8ELb0ELi1ESS_ST_ST_Li2ELi8ELi8ELb0ELi1ELi1ELi1ENSH_IJLi1ELi32ELi1ELi8EEEELi4EEEDF16_DF16_S4_S4_S4_NS6_INS7_IJSD_SF_SF_NS_7UnMergeINS7_IJiNSA_IiLi8EEEEEELb0EEESF_EEENS7_IJSI_SJ_SK_SO_SN_EEENS7_IJSM_SN_SO_NSH_IJLi5ELi6EEEENSH_IJLi7EEEEEEENSH_IJLi5ELi7ELi6EEEElEES16_NS6_INS7_IJSD_SF_SF_NSW_INS7_IJiNSA_IiLi256EEEEEELb0EEENSW_INS7_IJiNSA_IiLi128EEEEEELb0EEEEEENS7_IJSI_SJ_SK_SN_SO_EEENS7_IJSM_SN_SO_S12_NSH_IJLi7ELi8EEEEEEENSH_IJLi5ELi6ELi7ELi8EEEElEENS_13TensorAdaptorINS7_IJNSW_ISC_Lb0EEES1K_NS_23Merge_v2_magic_divisionINS7_IJiiSB_SB_EEEEEEEENS7_IJSI_SJ_NSH_IJLi2ELi3ELi4ELi5EEEEEEENS7_IJNSH_IJLi2ELi4EEEENSH_IJLi3ELi5EEEENSH_IJLi6EEEEEEENSH_IJLi0ELi1EEEES1T_EELb1EEEvPKT0_S1Z_PT1_T2_T3_T4_T5_T6_T7_T8_ ; -- Begin function _ZN2ck37kernel_gemm_xdl_waveletmodel_cshuffleINS_53GridwiseGemm_k0mk1_k0nk1_mn_xdl_waveletmodel_cshuffleIDF16_fDF16_DF16_NS_16tensor_operation12element_wise11PassThroughES4_S4_LNS_25InMemoryDataOperationEnumE0ENS_16TensorDescriptorINS_5TupleIJNS_5EmbedINS7_IJiiEEENS7_IJiNS_17integral_constantIiLi1EEEEEELb0EEENS_11PassThroughIiEESF_EEENS7_IJNS_8SequenceIJLi0EEEENSH_IJLi1EEEENSH_IJLi2EEEEEEENS7_IJNSH_IJLi1ELi2EEEENSH_IJLi3EEEENSH_IJLi4EEEEEEENSH_IJLi3ELi4EEEElEESR_SR_Li1ELi256ELi256ELi256ELi128ELi32ELi8ELi8ELi16ELi16ELi8ELi2ENSH_IJLi4ELi64ELi1EEEENSH_IJLi1ELi0ELi2EEEEST_Li2ELi8ELi8ELb0ELi1ESS_ST_ST_Li2ELi8ELi8ELb0ELi1ELi1ELi1ENSH_IJLi1ELi32ELi1ELi8EEEELi4EEEDF16_DF16_S4_S4_S4_NS6_INS7_IJSD_SF_SF_NS_7UnMergeINS7_IJiNSA_IiLi8EEEEEELb0EEESF_EEENS7_IJSI_SJ_SK_SO_SN_EEENS7_IJSM_SN_SO_NSH_IJLi5ELi6EEEENSH_IJLi7EEEEEEENSH_IJLi5ELi7ELi6EEEElEES16_NS6_INS7_IJSD_SF_SF_NSW_INS7_IJiNSA_IiLi256EEEEEELb0EEENSW_INS7_IJiNSA_IiLi128EEEEEELb0EEEEEENS7_IJSI_SJ_SK_SN_SO_EEENS7_IJSM_SN_SO_S12_NSH_IJLi7ELi8EEEEEEENSH_IJLi5ELi6ELi7ELi8EEEElEENS_13TensorAdaptorINS7_IJNSW_ISC_Lb0EEES1K_NS_23Merge_v2_magic_divisionINS7_IJiiSB_SB_EEEEEEEENS7_IJSI_SJ_NSH_IJLi2ELi3ELi4ELi5EEEEEEENS7_IJNSH_IJLi2ELi4EEEENSH_IJLi3ELi5EEEENSH_IJLi6EEEEEEENSH_IJLi0ELi1EEEES1T_EELb1EEEvPKT0_S1Z_PT1_T2_T3_T4_T5_T6_T7_T8_
	.globl	_ZN2ck37kernel_gemm_xdl_waveletmodel_cshuffleINS_53GridwiseGemm_k0mk1_k0nk1_mn_xdl_waveletmodel_cshuffleIDF16_fDF16_DF16_NS_16tensor_operation12element_wise11PassThroughES4_S4_LNS_25InMemoryDataOperationEnumE0ENS_16TensorDescriptorINS_5TupleIJNS_5EmbedINS7_IJiiEEENS7_IJiNS_17integral_constantIiLi1EEEEEELb0EEENS_11PassThroughIiEESF_EEENS7_IJNS_8SequenceIJLi0EEEENSH_IJLi1EEEENSH_IJLi2EEEEEEENS7_IJNSH_IJLi1ELi2EEEENSH_IJLi3EEEENSH_IJLi4EEEEEEENSH_IJLi3ELi4EEEElEESR_SR_Li1ELi256ELi256ELi256ELi128ELi32ELi8ELi8ELi16ELi16ELi8ELi2ENSH_IJLi4ELi64ELi1EEEENSH_IJLi1ELi0ELi2EEEEST_Li2ELi8ELi8ELb0ELi1ESS_ST_ST_Li2ELi8ELi8ELb0ELi1ELi1ELi1ENSH_IJLi1ELi32ELi1ELi8EEEELi4EEEDF16_DF16_S4_S4_S4_NS6_INS7_IJSD_SF_SF_NS_7UnMergeINS7_IJiNSA_IiLi8EEEEEELb0EEESF_EEENS7_IJSI_SJ_SK_SO_SN_EEENS7_IJSM_SN_SO_NSH_IJLi5ELi6EEEENSH_IJLi7EEEEEEENSH_IJLi5ELi7ELi6EEEElEES16_NS6_INS7_IJSD_SF_SF_NSW_INS7_IJiNSA_IiLi256EEEEEELb0EEENSW_INS7_IJiNSA_IiLi128EEEEEELb0EEEEEENS7_IJSI_SJ_SK_SN_SO_EEENS7_IJSM_SN_SO_S12_NSH_IJLi7ELi8EEEEEEENSH_IJLi5ELi6ELi7ELi8EEEElEENS_13TensorAdaptorINS7_IJNSW_ISC_Lb0EEES1K_NS_23Merge_v2_magic_divisionINS7_IJiiSB_SB_EEEEEEEENS7_IJSI_SJ_NSH_IJLi2ELi3ELi4ELi5EEEEEEENS7_IJNSH_IJLi2ELi4EEEENSH_IJLi3ELi5EEEENSH_IJLi6EEEEEEENSH_IJLi0ELi1EEEES1T_EELb1EEEvPKT0_S1Z_PT1_T2_T3_T4_T5_T6_T7_T8_
	.p2align	8
	.type	_ZN2ck37kernel_gemm_xdl_waveletmodel_cshuffleINS_53GridwiseGemm_k0mk1_k0nk1_mn_xdl_waveletmodel_cshuffleIDF16_fDF16_DF16_NS_16tensor_operation12element_wise11PassThroughES4_S4_LNS_25InMemoryDataOperationEnumE0ENS_16TensorDescriptorINS_5TupleIJNS_5EmbedINS7_IJiiEEENS7_IJiNS_17integral_constantIiLi1EEEEEELb0EEENS_11PassThroughIiEESF_EEENS7_IJNS_8SequenceIJLi0EEEENSH_IJLi1EEEENSH_IJLi2EEEEEEENS7_IJNSH_IJLi1ELi2EEEENSH_IJLi3EEEENSH_IJLi4EEEEEEENSH_IJLi3ELi4EEEElEESR_SR_Li1ELi256ELi256ELi256ELi128ELi32ELi8ELi8ELi16ELi16ELi8ELi2ENSH_IJLi4ELi64ELi1EEEENSH_IJLi1ELi0ELi2EEEEST_Li2ELi8ELi8ELb0ELi1ESS_ST_ST_Li2ELi8ELi8ELb0ELi1ELi1ELi1ENSH_IJLi1ELi32ELi1ELi8EEEELi4EEEDF16_DF16_S4_S4_S4_NS6_INS7_IJSD_SF_SF_NS_7UnMergeINS7_IJiNSA_IiLi8EEEEEELb0EEESF_EEENS7_IJSI_SJ_SK_SO_SN_EEENS7_IJSM_SN_SO_NSH_IJLi5ELi6EEEENSH_IJLi7EEEEEEENSH_IJLi5ELi7ELi6EEEElEES16_NS6_INS7_IJSD_SF_SF_NSW_INS7_IJiNSA_IiLi256EEEEEELb0EEENSW_INS7_IJiNSA_IiLi128EEEEEELb0EEEEEENS7_IJSI_SJ_SK_SN_SO_EEENS7_IJSM_SN_SO_S12_NSH_IJLi7ELi8EEEEEEENSH_IJLi5ELi6ELi7ELi8EEEElEENS_13TensorAdaptorINS7_IJNSW_ISC_Lb0EEES1K_NS_23Merge_v2_magic_divisionINS7_IJiiSB_SB_EEEEEEEENS7_IJSI_SJ_NSH_IJLi2ELi3ELi4ELi5EEEEEEENS7_IJNSH_IJLi2ELi4EEEENSH_IJLi3ELi5EEEENSH_IJLi6EEEEEEENSH_IJLi0ELi1EEEES1T_EELb1EEEvPKT0_S1Z_PT1_T2_T3_T4_T5_T6_T7_T8_,@function
_ZN2ck37kernel_gemm_xdl_waveletmodel_cshuffleINS_53GridwiseGemm_k0mk1_k0nk1_mn_xdl_waveletmodel_cshuffleIDF16_fDF16_DF16_NS_16tensor_operation12element_wise11PassThroughES4_S4_LNS_25InMemoryDataOperationEnumE0ENS_16TensorDescriptorINS_5TupleIJNS_5EmbedINS7_IJiiEEENS7_IJiNS_17integral_constantIiLi1EEEEEELb0EEENS_11PassThroughIiEESF_EEENS7_IJNS_8SequenceIJLi0EEEENSH_IJLi1EEEENSH_IJLi2EEEEEEENS7_IJNSH_IJLi1ELi2EEEENSH_IJLi3EEEENSH_IJLi4EEEEEEENSH_IJLi3ELi4EEEElEESR_SR_Li1ELi256ELi256ELi256ELi128ELi32ELi8ELi8ELi16ELi16ELi8ELi2ENSH_IJLi4ELi64ELi1EEEENSH_IJLi1ELi0ELi2EEEEST_Li2ELi8ELi8ELb0ELi1ESS_ST_ST_Li2ELi8ELi8ELb0ELi1ELi1ELi1ENSH_IJLi1ELi32ELi1ELi8EEEELi4EEEDF16_DF16_S4_S4_S4_NS6_INS7_IJSD_SF_SF_NS_7UnMergeINS7_IJiNSA_IiLi8EEEEEELb0EEESF_EEENS7_IJSI_SJ_SK_SO_SN_EEENS7_IJSM_SN_SO_NSH_IJLi5ELi6EEEENSH_IJLi7EEEEEEENSH_IJLi5ELi7ELi6EEEElEES16_NS6_INS7_IJSD_SF_SF_NSW_INS7_IJiNSA_IiLi256EEEEEELb0EEENSW_INS7_IJiNSA_IiLi128EEEEEELb0EEEEEENS7_IJSI_SJ_SK_SN_SO_EEENS7_IJSM_SN_SO_S12_NSH_IJLi7ELi8EEEEEEENSH_IJLi5ELi6ELi7ELi8EEEElEENS_13TensorAdaptorINS7_IJNSW_ISC_Lb0EEES1K_NS_23Merge_v2_magic_divisionINS7_IJiiSB_SB_EEEEEEEENS7_IJSI_SJ_NSH_IJLi2ELi3ELi4ELi5EEEEEEENS7_IJNSH_IJLi2ELi4EEEENSH_IJLi3ELi5EEEENSH_IJLi6EEEEEEENSH_IJLi0ELi1EEEES1T_EELb1EEEvPKT0_S1Z_PT1_T2_T3_T4_T5_T6_T7_T8_: ; @_ZN2ck37kernel_gemm_xdl_waveletmodel_cshuffleINS_53GridwiseGemm_k0mk1_k0nk1_mn_xdl_waveletmodel_cshuffleIDF16_fDF16_DF16_NS_16tensor_operation12element_wise11PassThroughES4_S4_LNS_25InMemoryDataOperationEnumE0ENS_16TensorDescriptorINS_5TupleIJNS_5EmbedINS7_IJiiEEENS7_IJiNS_17integral_constantIiLi1EEEEEELb0EEENS_11PassThroughIiEESF_EEENS7_IJNS_8SequenceIJLi0EEEENSH_IJLi1EEEENSH_IJLi2EEEEEEENS7_IJNSH_IJLi1ELi2EEEENSH_IJLi3EEEENSH_IJLi4EEEEEEENSH_IJLi3ELi4EEEElEESR_SR_Li1ELi256ELi256ELi256ELi128ELi32ELi8ELi8ELi16ELi16ELi8ELi2ENSH_IJLi4ELi64ELi1EEEENSH_IJLi1ELi0ELi2EEEEST_Li2ELi8ELi8ELb0ELi1ESS_ST_ST_Li2ELi8ELi8ELb0ELi1ELi1ELi1ENSH_IJLi1ELi32ELi1ELi8EEEELi4EEEDF16_DF16_S4_S4_S4_NS6_INS7_IJSD_SF_SF_NS_7UnMergeINS7_IJiNSA_IiLi8EEEEEELb0EEESF_EEENS7_IJSI_SJ_SK_SO_SN_EEENS7_IJSM_SN_SO_NSH_IJLi5ELi6EEEENSH_IJLi7EEEEEEENSH_IJLi5ELi7ELi6EEEElEES16_NS6_INS7_IJSD_SF_SF_NSW_INS7_IJiNSA_IiLi256EEEEEELb0EEENSW_INS7_IJiNSA_IiLi128EEEEEELb0EEEEEENS7_IJSI_SJ_SK_SN_SO_EEENS7_IJSM_SN_SO_S12_NSH_IJLi7ELi8EEEEEEENSH_IJLi5ELi6ELi7ELi8EEEElEENS_13TensorAdaptorINS7_IJNSW_ISC_Lb0EEES1K_NS_23Merge_v2_magic_divisionINS7_IJiiSB_SB_EEEEEEEENS7_IJSI_SJ_NSH_IJLi2ELi3ELi4ELi5EEEEEEENS7_IJNSH_IJLi2ELi4EEEENSH_IJLi3ELi5EEEENSH_IJLi6EEEEEEENSH_IJLi0ELi1EEEES1T_EELb1EEEvPKT0_S1Z_PT1_T2_T3_T4_T5_T6_T7_T8_
; %bb.0:
	s_endpgm
	.section	.rodata,"a",@progbits
	.p2align	6, 0x0
	.amdhsa_kernel _ZN2ck37kernel_gemm_xdl_waveletmodel_cshuffleINS_53GridwiseGemm_k0mk1_k0nk1_mn_xdl_waveletmodel_cshuffleIDF16_fDF16_DF16_NS_16tensor_operation12element_wise11PassThroughES4_S4_LNS_25InMemoryDataOperationEnumE0ENS_16TensorDescriptorINS_5TupleIJNS_5EmbedINS7_IJiiEEENS7_IJiNS_17integral_constantIiLi1EEEEEELb0EEENS_11PassThroughIiEESF_EEENS7_IJNS_8SequenceIJLi0EEEENSH_IJLi1EEEENSH_IJLi2EEEEEEENS7_IJNSH_IJLi1ELi2EEEENSH_IJLi3EEEENSH_IJLi4EEEEEEENSH_IJLi3ELi4EEEElEESR_SR_Li1ELi256ELi256ELi256ELi128ELi32ELi8ELi8ELi16ELi16ELi8ELi2ENSH_IJLi4ELi64ELi1EEEENSH_IJLi1ELi0ELi2EEEEST_Li2ELi8ELi8ELb0ELi1ESS_ST_ST_Li2ELi8ELi8ELb0ELi1ELi1ELi1ENSH_IJLi1ELi32ELi1ELi8EEEELi4EEEDF16_DF16_S4_S4_S4_NS6_INS7_IJSD_SF_SF_NS_7UnMergeINS7_IJiNSA_IiLi8EEEEEELb0EEESF_EEENS7_IJSI_SJ_SK_SO_SN_EEENS7_IJSM_SN_SO_NSH_IJLi5ELi6EEEENSH_IJLi7EEEEEEENSH_IJLi5ELi7ELi6EEEElEES16_NS6_INS7_IJSD_SF_SF_NSW_INS7_IJiNSA_IiLi256EEEEEELb0EEENSW_INS7_IJiNSA_IiLi128EEEEEELb0EEEEEENS7_IJSI_SJ_SK_SN_SO_EEENS7_IJSM_SN_SO_S12_NSH_IJLi7ELi8EEEEEEENSH_IJLi5ELi6ELi7ELi8EEEElEENS_13TensorAdaptorINS7_IJNSW_ISC_Lb0EEES1K_NS_23Merge_v2_magic_divisionINS7_IJiiSB_SB_EEEEEEEENS7_IJSI_SJ_NSH_IJLi2ELi3ELi4ELi5EEEEEEENS7_IJNSH_IJLi2ELi4EEEENSH_IJLi3ELi5EEEENSH_IJLi6EEEEEEENSH_IJLi0ELi1EEEES1T_EELb1EEEvPKT0_S1Z_PT1_T2_T3_T4_T5_T6_T7_T8_
		.amdhsa_group_segment_fixed_size 0
		.amdhsa_private_segment_fixed_size 0
		.amdhsa_kernarg_size 276
		.amdhsa_user_sgpr_count 6
		.amdhsa_user_sgpr_private_segment_buffer 1
		.amdhsa_user_sgpr_dispatch_ptr 0
		.amdhsa_user_sgpr_queue_ptr 0
		.amdhsa_user_sgpr_kernarg_segment_ptr 1
		.amdhsa_user_sgpr_dispatch_id 0
		.amdhsa_user_sgpr_flat_scratch_init 0
		.amdhsa_user_sgpr_private_segment_size 0
		.amdhsa_uses_dynamic_stack 0
		.amdhsa_system_sgpr_private_segment_wavefront_offset 0
		.amdhsa_system_sgpr_workgroup_id_x 1
		.amdhsa_system_sgpr_workgroup_id_y 0
		.amdhsa_system_sgpr_workgroup_id_z 0
		.amdhsa_system_sgpr_workgroup_info 0
		.amdhsa_system_vgpr_workitem_id 0
		.amdhsa_next_free_vgpr 1
		.amdhsa_next_free_sgpr 0
		.amdhsa_reserve_vcc 0
		.amdhsa_reserve_flat_scratch 0
		.amdhsa_float_round_mode_32 0
		.amdhsa_float_round_mode_16_64 0
		.amdhsa_float_denorm_mode_32 3
		.amdhsa_float_denorm_mode_16_64 3
		.amdhsa_dx10_clamp 1
		.amdhsa_ieee_mode 1
		.amdhsa_fp16_overflow 0
		.amdhsa_exception_fp_ieee_invalid_op 0
		.amdhsa_exception_fp_denorm_src 0
		.amdhsa_exception_fp_ieee_div_zero 0
		.amdhsa_exception_fp_ieee_overflow 0
		.amdhsa_exception_fp_ieee_underflow 0
		.amdhsa_exception_fp_ieee_inexact 0
		.amdhsa_exception_int_div_zero 0
	.end_amdhsa_kernel
	.section	.text._ZN2ck37kernel_gemm_xdl_waveletmodel_cshuffleINS_53GridwiseGemm_k0mk1_k0nk1_mn_xdl_waveletmodel_cshuffleIDF16_fDF16_DF16_NS_16tensor_operation12element_wise11PassThroughES4_S4_LNS_25InMemoryDataOperationEnumE0ENS_16TensorDescriptorINS_5TupleIJNS_5EmbedINS7_IJiiEEENS7_IJiNS_17integral_constantIiLi1EEEEEELb0EEENS_11PassThroughIiEESF_EEENS7_IJNS_8SequenceIJLi0EEEENSH_IJLi1EEEENSH_IJLi2EEEEEEENS7_IJNSH_IJLi1ELi2EEEENSH_IJLi3EEEENSH_IJLi4EEEEEEENSH_IJLi3ELi4EEEElEESR_SR_Li1ELi256ELi256ELi256ELi128ELi32ELi8ELi8ELi16ELi16ELi8ELi2ENSH_IJLi4ELi64ELi1EEEENSH_IJLi1ELi0ELi2EEEEST_Li2ELi8ELi8ELb0ELi1ESS_ST_ST_Li2ELi8ELi8ELb0ELi1ELi1ELi1ENSH_IJLi1ELi32ELi1ELi8EEEELi4EEEDF16_DF16_S4_S4_S4_NS6_INS7_IJSD_SF_SF_NS_7UnMergeINS7_IJiNSA_IiLi8EEEEEELb0EEESF_EEENS7_IJSI_SJ_SK_SO_SN_EEENS7_IJSM_SN_SO_NSH_IJLi5ELi6EEEENSH_IJLi7EEEEEEENSH_IJLi5ELi7ELi6EEEElEES16_NS6_INS7_IJSD_SF_SF_NSW_INS7_IJiNSA_IiLi256EEEEEELb0EEENSW_INS7_IJiNSA_IiLi128EEEEEELb0EEEEEENS7_IJSI_SJ_SK_SN_SO_EEENS7_IJSM_SN_SO_S12_NSH_IJLi7ELi8EEEEEEENSH_IJLi5ELi6ELi7ELi8EEEElEENS_13TensorAdaptorINS7_IJNSW_ISC_Lb0EEES1K_NS_23Merge_v2_magic_divisionINS7_IJiiSB_SB_EEEEEEEENS7_IJSI_SJ_NSH_IJLi2ELi3ELi4ELi5EEEEEEENS7_IJNSH_IJLi2ELi4EEEENSH_IJLi3ELi5EEEENSH_IJLi6EEEEEEENSH_IJLi0ELi1EEEES1T_EELb1EEEvPKT0_S1Z_PT1_T2_T3_T4_T5_T6_T7_T8_,"axG",@progbits,_ZN2ck37kernel_gemm_xdl_waveletmodel_cshuffleINS_53GridwiseGemm_k0mk1_k0nk1_mn_xdl_waveletmodel_cshuffleIDF16_fDF16_DF16_NS_16tensor_operation12element_wise11PassThroughES4_S4_LNS_25InMemoryDataOperationEnumE0ENS_16TensorDescriptorINS_5TupleIJNS_5EmbedINS7_IJiiEEENS7_IJiNS_17integral_constantIiLi1EEEEEELb0EEENS_11PassThroughIiEESF_EEENS7_IJNS_8SequenceIJLi0EEEENSH_IJLi1EEEENSH_IJLi2EEEEEEENS7_IJNSH_IJLi1ELi2EEEENSH_IJLi3EEEENSH_IJLi4EEEEEEENSH_IJLi3ELi4EEEElEESR_SR_Li1ELi256ELi256ELi256ELi128ELi32ELi8ELi8ELi16ELi16ELi8ELi2ENSH_IJLi4ELi64ELi1EEEENSH_IJLi1ELi0ELi2EEEEST_Li2ELi8ELi8ELb0ELi1ESS_ST_ST_Li2ELi8ELi8ELb0ELi1ELi1ELi1ENSH_IJLi1ELi32ELi1ELi8EEEELi4EEEDF16_DF16_S4_S4_S4_NS6_INS7_IJSD_SF_SF_NS_7UnMergeINS7_IJiNSA_IiLi8EEEEEELb0EEESF_EEENS7_IJSI_SJ_SK_SO_SN_EEENS7_IJSM_SN_SO_NSH_IJLi5ELi6EEEENSH_IJLi7EEEEEEENSH_IJLi5ELi7ELi6EEEElEES16_NS6_INS7_IJSD_SF_SF_NSW_INS7_IJiNSA_IiLi256EEEEEELb0EEENSW_INS7_IJiNSA_IiLi128EEEEEELb0EEEEEENS7_IJSI_SJ_SK_SN_SO_EEENS7_IJSM_SN_SO_S12_NSH_IJLi7ELi8EEEEEEENSH_IJLi5ELi6ELi7ELi8EEEElEENS_13TensorAdaptorINS7_IJNSW_ISC_Lb0EEES1K_NS_23Merge_v2_magic_divisionINS7_IJiiSB_SB_EEEEEEEENS7_IJSI_SJ_NSH_IJLi2ELi3ELi4ELi5EEEEEEENS7_IJNSH_IJLi2ELi4EEEENSH_IJLi3ELi5EEEENSH_IJLi6EEEEEEENSH_IJLi0ELi1EEEES1T_EELb1EEEvPKT0_S1Z_PT1_T2_T3_T4_T5_T6_T7_T8_,comdat
.Lfunc_end3:
	.size	_ZN2ck37kernel_gemm_xdl_waveletmodel_cshuffleINS_53GridwiseGemm_k0mk1_k0nk1_mn_xdl_waveletmodel_cshuffleIDF16_fDF16_DF16_NS_16tensor_operation12element_wise11PassThroughES4_S4_LNS_25InMemoryDataOperationEnumE0ENS_16TensorDescriptorINS_5TupleIJNS_5EmbedINS7_IJiiEEENS7_IJiNS_17integral_constantIiLi1EEEEEELb0EEENS_11PassThroughIiEESF_EEENS7_IJNS_8SequenceIJLi0EEEENSH_IJLi1EEEENSH_IJLi2EEEEEEENS7_IJNSH_IJLi1ELi2EEEENSH_IJLi3EEEENSH_IJLi4EEEEEEENSH_IJLi3ELi4EEEElEESR_SR_Li1ELi256ELi256ELi256ELi128ELi32ELi8ELi8ELi16ELi16ELi8ELi2ENSH_IJLi4ELi64ELi1EEEENSH_IJLi1ELi0ELi2EEEEST_Li2ELi8ELi8ELb0ELi1ESS_ST_ST_Li2ELi8ELi8ELb0ELi1ELi1ELi1ENSH_IJLi1ELi32ELi1ELi8EEEELi4EEEDF16_DF16_S4_S4_S4_NS6_INS7_IJSD_SF_SF_NS_7UnMergeINS7_IJiNSA_IiLi8EEEEEELb0EEESF_EEENS7_IJSI_SJ_SK_SO_SN_EEENS7_IJSM_SN_SO_NSH_IJLi5ELi6EEEENSH_IJLi7EEEEEEENSH_IJLi5ELi7ELi6EEEElEES16_NS6_INS7_IJSD_SF_SF_NSW_INS7_IJiNSA_IiLi256EEEEEELb0EEENSW_INS7_IJiNSA_IiLi128EEEEEELb0EEEEEENS7_IJSI_SJ_SK_SN_SO_EEENS7_IJSM_SN_SO_S12_NSH_IJLi7ELi8EEEEEEENSH_IJLi5ELi6ELi7ELi8EEEElEENS_13TensorAdaptorINS7_IJNSW_ISC_Lb0EEES1K_NS_23Merge_v2_magic_divisionINS7_IJiiSB_SB_EEEEEEEENS7_IJSI_SJ_NSH_IJLi2ELi3ELi4ELi5EEEEEEENS7_IJNSH_IJLi2ELi4EEEENSH_IJLi3ELi5EEEENSH_IJLi6EEEEEEENSH_IJLi0ELi1EEEES1T_EELb1EEEvPKT0_S1Z_PT1_T2_T3_T4_T5_T6_T7_T8_, .Lfunc_end3-_ZN2ck37kernel_gemm_xdl_waveletmodel_cshuffleINS_53GridwiseGemm_k0mk1_k0nk1_mn_xdl_waveletmodel_cshuffleIDF16_fDF16_DF16_NS_16tensor_operation12element_wise11PassThroughES4_S4_LNS_25InMemoryDataOperationEnumE0ENS_16TensorDescriptorINS_5TupleIJNS_5EmbedINS7_IJiiEEENS7_IJiNS_17integral_constantIiLi1EEEEEELb0EEENS_11PassThroughIiEESF_EEENS7_IJNS_8SequenceIJLi0EEEENSH_IJLi1EEEENSH_IJLi2EEEEEEENS7_IJNSH_IJLi1ELi2EEEENSH_IJLi3EEEENSH_IJLi4EEEEEEENSH_IJLi3ELi4EEEElEESR_SR_Li1ELi256ELi256ELi256ELi128ELi32ELi8ELi8ELi16ELi16ELi8ELi2ENSH_IJLi4ELi64ELi1EEEENSH_IJLi1ELi0ELi2EEEEST_Li2ELi8ELi8ELb0ELi1ESS_ST_ST_Li2ELi8ELi8ELb0ELi1ELi1ELi1ENSH_IJLi1ELi32ELi1ELi8EEEELi4EEEDF16_DF16_S4_S4_S4_NS6_INS7_IJSD_SF_SF_NS_7UnMergeINS7_IJiNSA_IiLi8EEEEEELb0EEESF_EEENS7_IJSI_SJ_SK_SO_SN_EEENS7_IJSM_SN_SO_NSH_IJLi5ELi6EEEENSH_IJLi7EEEEEEENSH_IJLi5ELi7ELi6EEEElEES16_NS6_INS7_IJSD_SF_SF_NSW_INS7_IJiNSA_IiLi256EEEEEELb0EEENSW_INS7_IJiNSA_IiLi128EEEEEELb0EEEEEENS7_IJSI_SJ_SK_SN_SO_EEENS7_IJSM_SN_SO_S12_NSH_IJLi7ELi8EEEEEEENSH_IJLi5ELi6ELi7ELi8EEEElEENS_13TensorAdaptorINS7_IJNSW_ISC_Lb0EEES1K_NS_23Merge_v2_magic_divisionINS7_IJiiSB_SB_EEEEEEEENS7_IJSI_SJ_NSH_IJLi2ELi3ELi4ELi5EEEEEEENS7_IJNSH_IJLi2ELi4EEEENSH_IJLi3ELi5EEEENSH_IJLi6EEEEEEENSH_IJLi0ELi1EEEES1T_EELb1EEEvPKT0_S1Z_PT1_T2_T3_T4_T5_T6_T7_T8_
                                        ; -- End function
	.set _ZN2ck37kernel_gemm_xdl_waveletmodel_cshuffleINS_53GridwiseGemm_k0mk1_k0nk1_mn_xdl_waveletmodel_cshuffleIDF16_fDF16_DF16_NS_16tensor_operation12element_wise11PassThroughES4_S4_LNS_25InMemoryDataOperationEnumE0ENS_16TensorDescriptorINS_5TupleIJNS_5EmbedINS7_IJiiEEENS7_IJiNS_17integral_constantIiLi1EEEEEELb0EEENS_11PassThroughIiEESF_EEENS7_IJNS_8SequenceIJLi0EEEENSH_IJLi1EEEENSH_IJLi2EEEEEEENS7_IJNSH_IJLi1ELi2EEEENSH_IJLi3EEEENSH_IJLi4EEEEEEENSH_IJLi3ELi4EEEElEESR_SR_Li1ELi256ELi256ELi256ELi128ELi32ELi8ELi8ELi16ELi16ELi8ELi2ENSH_IJLi4ELi64ELi1EEEENSH_IJLi1ELi0ELi2EEEEST_Li2ELi8ELi8ELb0ELi1ESS_ST_ST_Li2ELi8ELi8ELb0ELi1ELi1ELi1ENSH_IJLi1ELi32ELi1ELi8EEEELi4EEEDF16_DF16_S4_S4_S4_NS6_INS7_IJSD_SF_SF_NS_7UnMergeINS7_IJiNSA_IiLi8EEEEEELb0EEESF_EEENS7_IJSI_SJ_SK_SO_SN_EEENS7_IJSM_SN_SO_NSH_IJLi5ELi6EEEENSH_IJLi7EEEEEEENSH_IJLi5ELi7ELi6EEEElEES16_NS6_INS7_IJSD_SF_SF_NSW_INS7_IJiNSA_IiLi256EEEEEELb0EEENSW_INS7_IJiNSA_IiLi128EEEEEELb0EEEEEENS7_IJSI_SJ_SK_SN_SO_EEENS7_IJSM_SN_SO_S12_NSH_IJLi7ELi8EEEEEEENSH_IJLi5ELi6ELi7ELi8EEEElEENS_13TensorAdaptorINS7_IJNSW_ISC_Lb0EEES1K_NS_23Merge_v2_magic_divisionINS7_IJiiSB_SB_EEEEEEEENS7_IJSI_SJ_NSH_IJLi2ELi3ELi4ELi5EEEEEEENS7_IJNSH_IJLi2ELi4EEEENSH_IJLi3ELi5EEEENSH_IJLi6EEEEEEENSH_IJLi0ELi1EEEES1T_EELb1EEEvPKT0_S1Z_PT1_T2_T3_T4_T5_T6_T7_T8_.num_vgpr, 0
	.set _ZN2ck37kernel_gemm_xdl_waveletmodel_cshuffleINS_53GridwiseGemm_k0mk1_k0nk1_mn_xdl_waveletmodel_cshuffleIDF16_fDF16_DF16_NS_16tensor_operation12element_wise11PassThroughES4_S4_LNS_25InMemoryDataOperationEnumE0ENS_16TensorDescriptorINS_5TupleIJNS_5EmbedINS7_IJiiEEENS7_IJiNS_17integral_constantIiLi1EEEEEELb0EEENS_11PassThroughIiEESF_EEENS7_IJNS_8SequenceIJLi0EEEENSH_IJLi1EEEENSH_IJLi2EEEEEEENS7_IJNSH_IJLi1ELi2EEEENSH_IJLi3EEEENSH_IJLi4EEEEEEENSH_IJLi3ELi4EEEElEESR_SR_Li1ELi256ELi256ELi256ELi128ELi32ELi8ELi8ELi16ELi16ELi8ELi2ENSH_IJLi4ELi64ELi1EEEENSH_IJLi1ELi0ELi2EEEEST_Li2ELi8ELi8ELb0ELi1ESS_ST_ST_Li2ELi8ELi8ELb0ELi1ELi1ELi1ENSH_IJLi1ELi32ELi1ELi8EEEELi4EEEDF16_DF16_S4_S4_S4_NS6_INS7_IJSD_SF_SF_NS_7UnMergeINS7_IJiNSA_IiLi8EEEEEELb0EEESF_EEENS7_IJSI_SJ_SK_SO_SN_EEENS7_IJSM_SN_SO_NSH_IJLi5ELi6EEEENSH_IJLi7EEEEEEENSH_IJLi5ELi7ELi6EEEElEES16_NS6_INS7_IJSD_SF_SF_NSW_INS7_IJiNSA_IiLi256EEEEEELb0EEENSW_INS7_IJiNSA_IiLi128EEEEEELb0EEEEEENS7_IJSI_SJ_SK_SN_SO_EEENS7_IJSM_SN_SO_S12_NSH_IJLi7ELi8EEEEEEENSH_IJLi5ELi6ELi7ELi8EEEElEENS_13TensorAdaptorINS7_IJNSW_ISC_Lb0EEES1K_NS_23Merge_v2_magic_divisionINS7_IJiiSB_SB_EEEEEEEENS7_IJSI_SJ_NSH_IJLi2ELi3ELi4ELi5EEEEEEENS7_IJNSH_IJLi2ELi4EEEENSH_IJLi3ELi5EEEENSH_IJLi6EEEEEEENSH_IJLi0ELi1EEEES1T_EELb1EEEvPKT0_S1Z_PT1_T2_T3_T4_T5_T6_T7_T8_.num_agpr, 0
	.set _ZN2ck37kernel_gemm_xdl_waveletmodel_cshuffleINS_53GridwiseGemm_k0mk1_k0nk1_mn_xdl_waveletmodel_cshuffleIDF16_fDF16_DF16_NS_16tensor_operation12element_wise11PassThroughES4_S4_LNS_25InMemoryDataOperationEnumE0ENS_16TensorDescriptorINS_5TupleIJNS_5EmbedINS7_IJiiEEENS7_IJiNS_17integral_constantIiLi1EEEEEELb0EEENS_11PassThroughIiEESF_EEENS7_IJNS_8SequenceIJLi0EEEENSH_IJLi1EEEENSH_IJLi2EEEEEEENS7_IJNSH_IJLi1ELi2EEEENSH_IJLi3EEEENSH_IJLi4EEEEEEENSH_IJLi3ELi4EEEElEESR_SR_Li1ELi256ELi256ELi256ELi128ELi32ELi8ELi8ELi16ELi16ELi8ELi2ENSH_IJLi4ELi64ELi1EEEENSH_IJLi1ELi0ELi2EEEEST_Li2ELi8ELi8ELb0ELi1ESS_ST_ST_Li2ELi8ELi8ELb0ELi1ELi1ELi1ENSH_IJLi1ELi32ELi1ELi8EEEELi4EEEDF16_DF16_S4_S4_S4_NS6_INS7_IJSD_SF_SF_NS_7UnMergeINS7_IJiNSA_IiLi8EEEEEELb0EEESF_EEENS7_IJSI_SJ_SK_SO_SN_EEENS7_IJSM_SN_SO_NSH_IJLi5ELi6EEEENSH_IJLi7EEEEEEENSH_IJLi5ELi7ELi6EEEElEES16_NS6_INS7_IJSD_SF_SF_NSW_INS7_IJiNSA_IiLi256EEEEEELb0EEENSW_INS7_IJiNSA_IiLi128EEEEEELb0EEEEEENS7_IJSI_SJ_SK_SN_SO_EEENS7_IJSM_SN_SO_S12_NSH_IJLi7ELi8EEEEEEENSH_IJLi5ELi6ELi7ELi8EEEElEENS_13TensorAdaptorINS7_IJNSW_ISC_Lb0EEES1K_NS_23Merge_v2_magic_divisionINS7_IJiiSB_SB_EEEEEEEENS7_IJSI_SJ_NSH_IJLi2ELi3ELi4ELi5EEEEEEENS7_IJNSH_IJLi2ELi4EEEENSH_IJLi3ELi5EEEENSH_IJLi6EEEEEEENSH_IJLi0ELi1EEEES1T_EELb1EEEvPKT0_S1Z_PT1_T2_T3_T4_T5_T6_T7_T8_.numbered_sgpr, 0
	.set _ZN2ck37kernel_gemm_xdl_waveletmodel_cshuffleINS_53GridwiseGemm_k0mk1_k0nk1_mn_xdl_waveletmodel_cshuffleIDF16_fDF16_DF16_NS_16tensor_operation12element_wise11PassThroughES4_S4_LNS_25InMemoryDataOperationEnumE0ENS_16TensorDescriptorINS_5TupleIJNS_5EmbedINS7_IJiiEEENS7_IJiNS_17integral_constantIiLi1EEEEEELb0EEENS_11PassThroughIiEESF_EEENS7_IJNS_8SequenceIJLi0EEEENSH_IJLi1EEEENSH_IJLi2EEEEEEENS7_IJNSH_IJLi1ELi2EEEENSH_IJLi3EEEENSH_IJLi4EEEEEEENSH_IJLi3ELi4EEEElEESR_SR_Li1ELi256ELi256ELi256ELi128ELi32ELi8ELi8ELi16ELi16ELi8ELi2ENSH_IJLi4ELi64ELi1EEEENSH_IJLi1ELi0ELi2EEEEST_Li2ELi8ELi8ELb0ELi1ESS_ST_ST_Li2ELi8ELi8ELb0ELi1ELi1ELi1ENSH_IJLi1ELi32ELi1ELi8EEEELi4EEEDF16_DF16_S4_S4_S4_NS6_INS7_IJSD_SF_SF_NS_7UnMergeINS7_IJiNSA_IiLi8EEEEEELb0EEESF_EEENS7_IJSI_SJ_SK_SO_SN_EEENS7_IJSM_SN_SO_NSH_IJLi5ELi6EEEENSH_IJLi7EEEEEEENSH_IJLi5ELi7ELi6EEEElEES16_NS6_INS7_IJSD_SF_SF_NSW_INS7_IJiNSA_IiLi256EEEEEELb0EEENSW_INS7_IJiNSA_IiLi128EEEEEELb0EEEEEENS7_IJSI_SJ_SK_SN_SO_EEENS7_IJSM_SN_SO_S12_NSH_IJLi7ELi8EEEEEEENSH_IJLi5ELi6ELi7ELi8EEEElEENS_13TensorAdaptorINS7_IJNSW_ISC_Lb0EEES1K_NS_23Merge_v2_magic_divisionINS7_IJiiSB_SB_EEEEEEEENS7_IJSI_SJ_NSH_IJLi2ELi3ELi4ELi5EEEEEEENS7_IJNSH_IJLi2ELi4EEEENSH_IJLi3ELi5EEEENSH_IJLi6EEEEEEENSH_IJLi0ELi1EEEES1T_EELb1EEEvPKT0_S1Z_PT1_T2_T3_T4_T5_T6_T7_T8_.num_named_barrier, 0
	.set _ZN2ck37kernel_gemm_xdl_waveletmodel_cshuffleINS_53GridwiseGemm_k0mk1_k0nk1_mn_xdl_waveletmodel_cshuffleIDF16_fDF16_DF16_NS_16tensor_operation12element_wise11PassThroughES4_S4_LNS_25InMemoryDataOperationEnumE0ENS_16TensorDescriptorINS_5TupleIJNS_5EmbedINS7_IJiiEEENS7_IJiNS_17integral_constantIiLi1EEEEEELb0EEENS_11PassThroughIiEESF_EEENS7_IJNS_8SequenceIJLi0EEEENSH_IJLi1EEEENSH_IJLi2EEEEEEENS7_IJNSH_IJLi1ELi2EEEENSH_IJLi3EEEENSH_IJLi4EEEEEEENSH_IJLi3ELi4EEEElEESR_SR_Li1ELi256ELi256ELi256ELi128ELi32ELi8ELi8ELi16ELi16ELi8ELi2ENSH_IJLi4ELi64ELi1EEEENSH_IJLi1ELi0ELi2EEEEST_Li2ELi8ELi8ELb0ELi1ESS_ST_ST_Li2ELi8ELi8ELb0ELi1ELi1ELi1ENSH_IJLi1ELi32ELi1ELi8EEEELi4EEEDF16_DF16_S4_S4_S4_NS6_INS7_IJSD_SF_SF_NS_7UnMergeINS7_IJiNSA_IiLi8EEEEEELb0EEESF_EEENS7_IJSI_SJ_SK_SO_SN_EEENS7_IJSM_SN_SO_NSH_IJLi5ELi6EEEENSH_IJLi7EEEEEEENSH_IJLi5ELi7ELi6EEEElEES16_NS6_INS7_IJSD_SF_SF_NSW_INS7_IJiNSA_IiLi256EEEEEELb0EEENSW_INS7_IJiNSA_IiLi128EEEEEELb0EEEEEENS7_IJSI_SJ_SK_SN_SO_EEENS7_IJSM_SN_SO_S12_NSH_IJLi7ELi8EEEEEEENSH_IJLi5ELi6ELi7ELi8EEEElEENS_13TensorAdaptorINS7_IJNSW_ISC_Lb0EEES1K_NS_23Merge_v2_magic_divisionINS7_IJiiSB_SB_EEEEEEEENS7_IJSI_SJ_NSH_IJLi2ELi3ELi4ELi5EEEEEEENS7_IJNSH_IJLi2ELi4EEEENSH_IJLi3ELi5EEEENSH_IJLi6EEEEEEENSH_IJLi0ELi1EEEES1T_EELb1EEEvPKT0_S1Z_PT1_T2_T3_T4_T5_T6_T7_T8_.private_seg_size, 0
	.set _ZN2ck37kernel_gemm_xdl_waveletmodel_cshuffleINS_53GridwiseGemm_k0mk1_k0nk1_mn_xdl_waveletmodel_cshuffleIDF16_fDF16_DF16_NS_16tensor_operation12element_wise11PassThroughES4_S4_LNS_25InMemoryDataOperationEnumE0ENS_16TensorDescriptorINS_5TupleIJNS_5EmbedINS7_IJiiEEENS7_IJiNS_17integral_constantIiLi1EEEEEELb0EEENS_11PassThroughIiEESF_EEENS7_IJNS_8SequenceIJLi0EEEENSH_IJLi1EEEENSH_IJLi2EEEEEEENS7_IJNSH_IJLi1ELi2EEEENSH_IJLi3EEEENSH_IJLi4EEEEEEENSH_IJLi3ELi4EEEElEESR_SR_Li1ELi256ELi256ELi256ELi128ELi32ELi8ELi8ELi16ELi16ELi8ELi2ENSH_IJLi4ELi64ELi1EEEENSH_IJLi1ELi0ELi2EEEEST_Li2ELi8ELi8ELb0ELi1ESS_ST_ST_Li2ELi8ELi8ELb0ELi1ELi1ELi1ENSH_IJLi1ELi32ELi1ELi8EEEELi4EEEDF16_DF16_S4_S4_S4_NS6_INS7_IJSD_SF_SF_NS_7UnMergeINS7_IJiNSA_IiLi8EEEEEELb0EEESF_EEENS7_IJSI_SJ_SK_SO_SN_EEENS7_IJSM_SN_SO_NSH_IJLi5ELi6EEEENSH_IJLi7EEEEEEENSH_IJLi5ELi7ELi6EEEElEES16_NS6_INS7_IJSD_SF_SF_NSW_INS7_IJiNSA_IiLi256EEEEEELb0EEENSW_INS7_IJiNSA_IiLi128EEEEEELb0EEEEEENS7_IJSI_SJ_SK_SN_SO_EEENS7_IJSM_SN_SO_S12_NSH_IJLi7ELi8EEEEEEENSH_IJLi5ELi6ELi7ELi8EEEElEENS_13TensorAdaptorINS7_IJNSW_ISC_Lb0EEES1K_NS_23Merge_v2_magic_divisionINS7_IJiiSB_SB_EEEEEEEENS7_IJSI_SJ_NSH_IJLi2ELi3ELi4ELi5EEEEEEENS7_IJNSH_IJLi2ELi4EEEENSH_IJLi3ELi5EEEENSH_IJLi6EEEEEEENSH_IJLi0ELi1EEEES1T_EELb1EEEvPKT0_S1Z_PT1_T2_T3_T4_T5_T6_T7_T8_.uses_vcc, 0
	.set _ZN2ck37kernel_gemm_xdl_waveletmodel_cshuffleINS_53GridwiseGemm_k0mk1_k0nk1_mn_xdl_waveletmodel_cshuffleIDF16_fDF16_DF16_NS_16tensor_operation12element_wise11PassThroughES4_S4_LNS_25InMemoryDataOperationEnumE0ENS_16TensorDescriptorINS_5TupleIJNS_5EmbedINS7_IJiiEEENS7_IJiNS_17integral_constantIiLi1EEEEEELb0EEENS_11PassThroughIiEESF_EEENS7_IJNS_8SequenceIJLi0EEEENSH_IJLi1EEEENSH_IJLi2EEEEEEENS7_IJNSH_IJLi1ELi2EEEENSH_IJLi3EEEENSH_IJLi4EEEEEEENSH_IJLi3ELi4EEEElEESR_SR_Li1ELi256ELi256ELi256ELi128ELi32ELi8ELi8ELi16ELi16ELi8ELi2ENSH_IJLi4ELi64ELi1EEEENSH_IJLi1ELi0ELi2EEEEST_Li2ELi8ELi8ELb0ELi1ESS_ST_ST_Li2ELi8ELi8ELb0ELi1ELi1ELi1ENSH_IJLi1ELi32ELi1ELi8EEEELi4EEEDF16_DF16_S4_S4_S4_NS6_INS7_IJSD_SF_SF_NS_7UnMergeINS7_IJiNSA_IiLi8EEEEEELb0EEESF_EEENS7_IJSI_SJ_SK_SO_SN_EEENS7_IJSM_SN_SO_NSH_IJLi5ELi6EEEENSH_IJLi7EEEEEEENSH_IJLi5ELi7ELi6EEEElEES16_NS6_INS7_IJSD_SF_SF_NSW_INS7_IJiNSA_IiLi256EEEEEELb0EEENSW_INS7_IJiNSA_IiLi128EEEEEELb0EEEEEENS7_IJSI_SJ_SK_SN_SO_EEENS7_IJSM_SN_SO_S12_NSH_IJLi7ELi8EEEEEEENSH_IJLi5ELi6ELi7ELi8EEEElEENS_13TensorAdaptorINS7_IJNSW_ISC_Lb0EEES1K_NS_23Merge_v2_magic_divisionINS7_IJiiSB_SB_EEEEEEEENS7_IJSI_SJ_NSH_IJLi2ELi3ELi4ELi5EEEEEEENS7_IJNSH_IJLi2ELi4EEEENSH_IJLi3ELi5EEEENSH_IJLi6EEEEEEENSH_IJLi0ELi1EEEES1T_EELb1EEEvPKT0_S1Z_PT1_T2_T3_T4_T5_T6_T7_T8_.uses_flat_scratch, 0
	.set _ZN2ck37kernel_gemm_xdl_waveletmodel_cshuffleINS_53GridwiseGemm_k0mk1_k0nk1_mn_xdl_waveletmodel_cshuffleIDF16_fDF16_DF16_NS_16tensor_operation12element_wise11PassThroughES4_S4_LNS_25InMemoryDataOperationEnumE0ENS_16TensorDescriptorINS_5TupleIJNS_5EmbedINS7_IJiiEEENS7_IJiNS_17integral_constantIiLi1EEEEEELb0EEENS_11PassThroughIiEESF_EEENS7_IJNS_8SequenceIJLi0EEEENSH_IJLi1EEEENSH_IJLi2EEEEEEENS7_IJNSH_IJLi1ELi2EEEENSH_IJLi3EEEENSH_IJLi4EEEEEEENSH_IJLi3ELi4EEEElEESR_SR_Li1ELi256ELi256ELi256ELi128ELi32ELi8ELi8ELi16ELi16ELi8ELi2ENSH_IJLi4ELi64ELi1EEEENSH_IJLi1ELi0ELi2EEEEST_Li2ELi8ELi8ELb0ELi1ESS_ST_ST_Li2ELi8ELi8ELb0ELi1ELi1ELi1ENSH_IJLi1ELi32ELi1ELi8EEEELi4EEEDF16_DF16_S4_S4_S4_NS6_INS7_IJSD_SF_SF_NS_7UnMergeINS7_IJiNSA_IiLi8EEEEEELb0EEESF_EEENS7_IJSI_SJ_SK_SO_SN_EEENS7_IJSM_SN_SO_NSH_IJLi5ELi6EEEENSH_IJLi7EEEEEEENSH_IJLi5ELi7ELi6EEEElEES16_NS6_INS7_IJSD_SF_SF_NSW_INS7_IJiNSA_IiLi256EEEEEELb0EEENSW_INS7_IJiNSA_IiLi128EEEEEELb0EEEEEENS7_IJSI_SJ_SK_SN_SO_EEENS7_IJSM_SN_SO_S12_NSH_IJLi7ELi8EEEEEEENSH_IJLi5ELi6ELi7ELi8EEEElEENS_13TensorAdaptorINS7_IJNSW_ISC_Lb0EEES1K_NS_23Merge_v2_magic_divisionINS7_IJiiSB_SB_EEEEEEEENS7_IJSI_SJ_NSH_IJLi2ELi3ELi4ELi5EEEEEEENS7_IJNSH_IJLi2ELi4EEEENSH_IJLi3ELi5EEEENSH_IJLi6EEEEEEENSH_IJLi0ELi1EEEES1T_EELb1EEEvPKT0_S1Z_PT1_T2_T3_T4_T5_T6_T7_T8_.has_dyn_sized_stack, 0
	.set _ZN2ck37kernel_gemm_xdl_waveletmodel_cshuffleINS_53GridwiseGemm_k0mk1_k0nk1_mn_xdl_waveletmodel_cshuffleIDF16_fDF16_DF16_NS_16tensor_operation12element_wise11PassThroughES4_S4_LNS_25InMemoryDataOperationEnumE0ENS_16TensorDescriptorINS_5TupleIJNS_5EmbedINS7_IJiiEEENS7_IJiNS_17integral_constantIiLi1EEEEEELb0EEENS_11PassThroughIiEESF_EEENS7_IJNS_8SequenceIJLi0EEEENSH_IJLi1EEEENSH_IJLi2EEEEEEENS7_IJNSH_IJLi1ELi2EEEENSH_IJLi3EEEENSH_IJLi4EEEEEEENSH_IJLi3ELi4EEEElEESR_SR_Li1ELi256ELi256ELi256ELi128ELi32ELi8ELi8ELi16ELi16ELi8ELi2ENSH_IJLi4ELi64ELi1EEEENSH_IJLi1ELi0ELi2EEEEST_Li2ELi8ELi8ELb0ELi1ESS_ST_ST_Li2ELi8ELi8ELb0ELi1ELi1ELi1ENSH_IJLi1ELi32ELi1ELi8EEEELi4EEEDF16_DF16_S4_S4_S4_NS6_INS7_IJSD_SF_SF_NS_7UnMergeINS7_IJiNSA_IiLi8EEEEEELb0EEESF_EEENS7_IJSI_SJ_SK_SO_SN_EEENS7_IJSM_SN_SO_NSH_IJLi5ELi6EEEENSH_IJLi7EEEEEEENSH_IJLi5ELi7ELi6EEEElEES16_NS6_INS7_IJSD_SF_SF_NSW_INS7_IJiNSA_IiLi256EEEEEELb0EEENSW_INS7_IJiNSA_IiLi128EEEEEELb0EEEEEENS7_IJSI_SJ_SK_SN_SO_EEENS7_IJSM_SN_SO_S12_NSH_IJLi7ELi8EEEEEEENSH_IJLi5ELi6ELi7ELi8EEEElEENS_13TensorAdaptorINS7_IJNSW_ISC_Lb0EEES1K_NS_23Merge_v2_magic_divisionINS7_IJiiSB_SB_EEEEEEEENS7_IJSI_SJ_NSH_IJLi2ELi3ELi4ELi5EEEEEEENS7_IJNSH_IJLi2ELi4EEEENSH_IJLi3ELi5EEEENSH_IJLi6EEEEEEENSH_IJLi0ELi1EEEES1T_EELb1EEEvPKT0_S1Z_PT1_T2_T3_T4_T5_T6_T7_T8_.has_recursion, 0
	.set _ZN2ck37kernel_gemm_xdl_waveletmodel_cshuffleINS_53GridwiseGemm_k0mk1_k0nk1_mn_xdl_waveletmodel_cshuffleIDF16_fDF16_DF16_NS_16tensor_operation12element_wise11PassThroughES4_S4_LNS_25InMemoryDataOperationEnumE0ENS_16TensorDescriptorINS_5TupleIJNS_5EmbedINS7_IJiiEEENS7_IJiNS_17integral_constantIiLi1EEEEEELb0EEENS_11PassThroughIiEESF_EEENS7_IJNS_8SequenceIJLi0EEEENSH_IJLi1EEEENSH_IJLi2EEEEEEENS7_IJNSH_IJLi1ELi2EEEENSH_IJLi3EEEENSH_IJLi4EEEEEEENSH_IJLi3ELi4EEEElEESR_SR_Li1ELi256ELi256ELi256ELi128ELi32ELi8ELi8ELi16ELi16ELi8ELi2ENSH_IJLi4ELi64ELi1EEEENSH_IJLi1ELi0ELi2EEEEST_Li2ELi8ELi8ELb0ELi1ESS_ST_ST_Li2ELi8ELi8ELb0ELi1ELi1ELi1ENSH_IJLi1ELi32ELi1ELi8EEEELi4EEEDF16_DF16_S4_S4_S4_NS6_INS7_IJSD_SF_SF_NS_7UnMergeINS7_IJiNSA_IiLi8EEEEEELb0EEESF_EEENS7_IJSI_SJ_SK_SO_SN_EEENS7_IJSM_SN_SO_NSH_IJLi5ELi6EEEENSH_IJLi7EEEEEEENSH_IJLi5ELi7ELi6EEEElEES16_NS6_INS7_IJSD_SF_SF_NSW_INS7_IJiNSA_IiLi256EEEEEELb0EEENSW_INS7_IJiNSA_IiLi128EEEEEELb0EEEEEENS7_IJSI_SJ_SK_SN_SO_EEENS7_IJSM_SN_SO_S12_NSH_IJLi7ELi8EEEEEEENSH_IJLi5ELi6ELi7ELi8EEEElEENS_13TensorAdaptorINS7_IJNSW_ISC_Lb0EEES1K_NS_23Merge_v2_magic_divisionINS7_IJiiSB_SB_EEEEEEEENS7_IJSI_SJ_NSH_IJLi2ELi3ELi4ELi5EEEEEEENS7_IJNSH_IJLi2ELi4EEEENSH_IJLi3ELi5EEEENSH_IJLi6EEEEEEENSH_IJLi0ELi1EEEES1T_EELb1EEEvPKT0_S1Z_PT1_T2_T3_T4_T5_T6_T7_T8_.has_indirect_call, 0
	.section	.AMDGPU.csdata,"",@progbits
; Kernel info:
; codeLenInByte = 4
; TotalNumSgprs: 4
; NumVgprs: 0
; ScratchSize: 0
; MemoryBound: 0
; FloatMode: 240
; IeeeMode: 1
; LDSByteSize: 0 bytes/workgroup (compile time only)
; SGPRBlocks: 0
; VGPRBlocks: 0
; NumSGPRsForWavesPerEU: 4
; NumVGPRsForWavesPerEU: 1
; Occupancy: 10
; WaveLimiterHint : 0
; COMPUTE_PGM_RSRC2:SCRATCH_EN: 0
; COMPUTE_PGM_RSRC2:USER_SGPR: 6
; COMPUTE_PGM_RSRC2:TRAP_HANDLER: 0
; COMPUTE_PGM_RSRC2:TGID_X_EN: 1
; COMPUTE_PGM_RSRC2:TGID_Y_EN: 0
; COMPUTE_PGM_RSRC2:TGID_Z_EN: 0
; COMPUTE_PGM_RSRC2:TIDIG_COMP_CNT: 0
	.section	.text._ZN2ck37kernel_gemm_xdl_waveletmodel_cshuffleINS_53GridwiseGemm_k0mk1_k0nk1_mn_xdl_waveletmodel_cshuffleIDF16_fDF16_DF16_NS_16tensor_operation12element_wise11PassThroughES4_S4_LNS_25InMemoryDataOperationEnumE0ENS_16TensorDescriptorINS_5TupleIJNS_5EmbedINS7_IJiiEEENS7_IJiNS_17integral_constantIiLi1EEEEEELb0EEENS_11PassThroughIiEESF_EEENS7_IJNS_8SequenceIJLi0EEEENSH_IJLi1EEEENSH_IJLi2EEEEEEENS7_IJNSH_IJLi1ELi2EEEENSH_IJLi3EEEENSH_IJLi4EEEEEEENSH_IJLi3ELi4EEEElEESR_SR_Li1ELi256ELi256ELi256ELi128ELi32ELi8ELi8ELi16ELi16ELi8ELi2ENSH_IJLi4ELi64ELi1EEEENSH_IJLi1ELi0ELi2EEEEST_Li2ELi8ELi8ELb0ELi1ESS_ST_ST_Li2ELi8ELi8ELb0ELi1ELi1ELi1ENSH_IJLi1ELi32ELi1ELi8EEEELi4EEEDF16_DF16_S4_S4_S4_NS6_INS7_IJSD_SF_SF_NS_7UnMergeINS7_IJiNSA_IiLi8EEEEEELb0EEESF_EEENS7_IJSI_SJ_SK_SO_SN_EEENS7_IJSM_SN_SO_NSH_IJLi5ELi6EEEENSH_IJLi7EEEEEEENSH_IJLi5ELi7ELi6EEEElEES16_NS6_INS7_IJSD_SF_SF_NSW_INS7_IJiNSA_IiLi256EEEEEELb0EEENSW_INS7_IJiNSA_IiLi128EEEEEELb0EEEEEENS7_IJSI_SJ_SK_SN_SO_EEENS7_IJSM_SN_SO_S12_NSH_IJLi7ELi8EEEEEEENSH_IJLi5ELi6ELi7ELi8EEEElEENS_13TensorAdaptorINS7_IJNSW_ISC_Lb0EEES1K_NS_23Merge_v2_magic_divisionINS7_IJiiSB_SB_EEEEEEEENS7_IJSI_SJ_NSH_IJLi2ELi3ELi4ELi5EEEEEEENS7_IJNSH_IJLi2ELi4EEEENSH_IJLi3ELi5EEEENSH_IJLi6EEEEEEENSH_IJLi0ELi1EEEES1T_EELb0EEEvPKT0_S1Z_PT1_T2_T3_T4_T5_T6_T7_T8_,"axG",@progbits,_ZN2ck37kernel_gemm_xdl_waveletmodel_cshuffleINS_53GridwiseGemm_k0mk1_k0nk1_mn_xdl_waveletmodel_cshuffleIDF16_fDF16_DF16_NS_16tensor_operation12element_wise11PassThroughES4_S4_LNS_25InMemoryDataOperationEnumE0ENS_16TensorDescriptorINS_5TupleIJNS_5EmbedINS7_IJiiEEENS7_IJiNS_17integral_constantIiLi1EEEEEELb0EEENS_11PassThroughIiEESF_EEENS7_IJNS_8SequenceIJLi0EEEENSH_IJLi1EEEENSH_IJLi2EEEEEEENS7_IJNSH_IJLi1ELi2EEEENSH_IJLi3EEEENSH_IJLi4EEEEEEENSH_IJLi3ELi4EEEElEESR_SR_Li1ELi256ELi256ELi256ELi128ELi32ELi8ELi8ELi16ELi16ELi8ELi2ENSH_IJLi4ELi64ELi1EEEENSH_IJLi1ELi0ELi2EEEEST_Li2ELi8ELi8ELb0ELi1ESS_ST_ST_Li2ELi8ELi8ELb0ELi1ELi1ELi1ENSH_IJLi1ELi32ELi1ELi8EEEELi4EEEDF16_DF16_S4_S4_S4_NS6_INS7_IJSD_SF_SF_NS_7UnMergeINS7_IJiNSA_IiLi8EEEEEELb0EEESF_EEENS7_IJSI_SJ_SK_SO_SN_EEENS7_IJSM_SN_SO_NSH_IJLi5ELi6EEEENSH_IJLi7EEEEEEENSH_IJLi5ELi7ELi6EEEElEES16_NS6_INS7_IJSD_SF_SF_NSW_INS7_IJiNSA_IiLi256EEEEEELb0EEENSW_INS7_IJiNSA_IiLi128EEEEEELb0EEEEEENS7_IJSI_SJ_SK_SN_SO_EEENS7_IJSM_SN_SO_S12_NSH_IJLi7ELi8EEEEEEENSH_IJLi5ELi6ELi7ELi8EEEElEENS_13TensorAdaptorINS7_IJNSW_ISC_Lb0EEES1K_NS_23Merge_v2_magic_divisionINS7_IJiiSB_SB_EEEEEEEENS7_IJSI_SJ_NSH_IJLi2ELi3ELi4ELi5EEEEEEENS7_IJNSH_IJLi2ELi4EEEENSH_IJLi3ELi5EEEENSH_IJLi6EEEEEEENSH_IJLi0ELi1EEEES1T_EELb0EEEvPKT0_S1Z_PT1_T2_T3_T4_T5_T6_T7_T8_,comdat
	.protected	_ZN2ck37kernel_gemm_xdl_waveletmodel_cshuffleINS_53GridwiseGemm_k0mk1_k0nk1_mn_xdl_waveletmodel_cshuffleIDF16_fDF16_DF16_NS_16tensor_operation12element_wise11PassThroughES4_S4_LNS_25InMemoryDataOperationEnumE0ENS_16TensorDescriptorINS_5TupleIJNS_5EmbedINS7_IJiiEEENS7_IJiNS_17integral_constantIiLi1EEEEEELb0EEENS_11PassThroughIiEESF_EEENS7_IJNS_8SequenceIJLi0EEEENSH_IJLi1EEEENSH_IJLi2EEEEEEENS7_IJNSH_IJLi1ELi2EEEENSH_IJLi3EEEENSH_IJLi4EEEEEEENSH_IJLi3ELi4EEEElEESR_SR_Li1ELi256ELi256ELi256ELi128ELi32ELi8ELi8ELi16ELi16ELi8ELi2ENSH_IJLi4ELi64ELi1EEEENSH_IJLi1ELi0ELi2EEEEST_Li2ELi8ELi8ELb0ELi1ESS_ST_ST_Li2ELi8ELi8ELb0ELi1ELi1ELi1ENSH_IJLi1ELi32ELi1ELi8EEEELi4EEEDF16_DF16_S4_S4_S4_NS6_INS7_IJSD_SF_SF_NS_7UnMergeINS7_IJiNSA_IiLi8EEEEEELb0EEESF_EEENS7_IJSI_SJ_SK_SO_SN_EEENS7_IJSM_SN_SO_NSH_IJLi5ELi6EEEENSH_IJLi7EEEEEEENSH_IJLi5ELi7ELi6EEEElEES16_NS6_INS7_IJSD_SF_SF_NSW_INS7_IJiNSA_IiLi256EEEEEELb0EEENSW_INS7_IJiNSA_IiLi128EEEEEELb0EEEEEENS7_IJSI_SJ_SK_SN_SO_EEENS7_IJSM_SN_SO_S12_NSH_IJLi7ELi8EEEEEEENSH_IJLi5ELi6ELi7ELi8EEEElEENS_13TensorAdaptorINS7_IJNSW_ISC_Lb0EEES1K_NS_23Merge_v2_magic_divisionINS7_IJiiSB_SB_EEEEEEEENS7_IJSI_SJ_NSH_IJLi2ELi3ELi4ELi5EEEEEEENS7_IJNSH_IJLi2ELi4EEEENSH_IJLi3ELi5EEEENSH_IJLi6EEEEEEENSH_IJLi0ELi1EEEES1T_EELb0EEEvPKT0_S1Z_PT1_T2_T3_T4_T5_T6_T7_T8_ ; -- Begin function _ZN2ck37kernel_gemm_xdl_waveletmodel_cshuffleINS_53GridwiseGemm_k0mk1_k0nk1_mn_xdl_waveletmodel_cshuffleIDF16_fDF16_DF16_NS_16tensor_operation12element_wise11PassThroughES4_S4_LNS_25InMemoryDataOperationEnumE0ENS_16TensorDescriptorINS_5TupleIJNS_5EmbedINS7_IJiiEEENS7_IJiNS_17integral_constantIiLi1EEEEEELb0EEENS_11PassThroughIiEESF_EEENS7_IJNS_8SequenceIJLi0EEEENSH_IJLi1EEEENSH_IJLi2EEEEEEENS7_IJNSH_IJLi1ELi2EEEENSH_IJLi3EEEENSH_IJLi4EEEEEEENSH_IJLi3ELi4EEEElEESR_SR_Li1ELi256ELi256ELi256ELi128ELi32ELi8ELi8ELi16ELi16ELi8ELi2ENSH_IJLi4ELi64ELi1EEEENSH_IJLi1ELi0ELi2EEEEST_Li2ELi8ELi8ELb0ELi1ESS_ST_ST_Li2ELi8ELi8ELb0ELi1ELi1ELi1ENSH_IJLi1ELi32ELi1ELi8EEEELi4EEEDF16_DF16_S4_S4_S4_NS6_INS7_IJSD_SF_SF_NS_7UnMergeINS7_IJiNSA_IiLi8EEEEEELb0EEESF_EEENS7_IJSI_SJ_SK_SO_SN_EEENS7_IJSM_SN_SO_NSH_IJLi5ELi6EEEENSH_IJLi7EEEEEEENSH_IJLi5ELi7ELi6EEEElEES16_NS6_INS7_IJSD_SF_SF_NSW_INS7_IJiNSA_IiLi256EEEEEELb0EEENSW_INS7_IJiNSA_IiLi128EEEEEELb0EEEEEENS7_IJSI_SJ_SK_SN_SO_EEENS7_IJSM_SN_SO_S12_NSH_IJLi7ELi8EEEEEEENSH_IJLi5ELi6ELi7ELi8EEEElEENS_13TensorAdaptorINS7_IJNSW_ISC_Lb0EEES1K_NS_23Merge_v2_magic_divisionINS7_IJiiSB_SB_EEEEEEEENS7_IJSI_SJ_NSH_IJLi2ELi3ELi4ELi5EEEEEEENS7_IJNSH_IJLi2ELi4EEEENSH_IJLi3ELi5EEEENSH_IJLi6EEEEEEENSH_IJLi0ELi1EEEES1T_EELb0EEEvPKT0_S1Z_PT1_T2_T3_T4_T5_T6_T7_T8_
	.globl	_ZN2ck37kernel_gemm_xdl_waveletmodel_cshuffleINS_53GridwiseGemm_k0mk1_k0nk1_mn_xdl_waveletmodel_cshuffleIDF16_fDF16_DF16_NS_16tensor_operation12element_wise11PassThroughES4_S4_LNS_25InMemoryDataOperationEnumE0ENS_16TensorDescriptorINS_5TupleIJNS_5EmbedINS7_IJiiEEENS7_IJiNS_17integral_constantIiLi1EEEEEELb0EEENS_11PassThroughIiEESF_EEENS7_IJNS_8SequenceIJLi0EEEENSH_IJLi1EEEENSH_IJLi2EEEEEEENS7_IJNSH_IJLi1ELi2EEEENSH_IJLi3EEEENSH_IJLi4EEEEEEENSH_IJLi3ELi4EEEElEESR_SR_Li1ELi256ELi256ELi256ELi128ELi32ELi8ELi8ELi16ELi16ELi8ELi2ENSH_IJLi4ELi64ELi1EEEENSH_IJLi1ELi0ELi2EEEEST_Li2ELi8ELi8ELb0ELi1ESS_ST_ST_Li2ELi8ELi8ELb0ELi1ELi1ELi1ENSH_IJLi1ELi32ELi1ELi8EEEELi4EEEDF16_DF16_S4_S4_S4_NS6_INS7_IJSD_SF_SF_NS_7UnMergeINS7_IJiNSA_IiLi8EEEEEELb0EEESF_EEENS7_IJSI_SJ_SK_SO_SN_EEENS7_IJSM_SN_SO_NSH_IJLi5ELi6EEEENSH_IJLi7EEEEEEENSH_IJLi5ELi7ELi6EEEElEES16_NS6_INS7_IJSD_SF_SF_NSW_INS7_IJiNSA_IiLi256EEEEEELb0EEENSW_INS7_IJiNSA_IiLi128EEEEEELb0EEEEEENS7_IJSI_SJ_SK_SN_SO_EEENS7_IJSM_SN_SO_S12_NSH_IJLi7ELi8EEEEEEENSH_IJLi5ELi6ELi7ELi8EEEElEENS_13TensorAdaptorINS7_IJNSW_ISC_Lb0EEES1K_NS_23Merge_v2_magic_divisionINS7_IJiiSB_SB_EEEEEEEENS7_IJSI_SJ_NSH_IJLi2ELi3ELi4ELi5EEEEEEENS7_IJNSH_IJLi2ELi4EEEENSH_IJLi3ELi5EEEENSH_IJLi6EEEEEEENSH_IJLi0ELi1EEEES1T_EELb0EEEvPKT0_S1Z_PT1_T2_T3_T4_T5_T6_T7_T8_
	.p2align	8
	.type	_ZN2ck37kernel_gemm_xdl_waveletmodel_cshuffleINS_53GridwiseGemm_k0mk1_k0nk1_mn_xdl_waveletmodel_cshuffleIDF16_fDF16_DF16_NS_16tensor_operation12element_wise11PassThroughES4_S4_LNS_25InMemoryDataOperationEnumE0ENS_16TensorDescriptorINS_5TupleIJNS_5EmbedINS7_IJiiEEENS7_IJiNS_17integral_constantIiLi1EEEEEELb0EEENS_11PassThroughIiEESF_EEENS7_IJNS_8SequenceIJLi0EEEENSH_IJLi1EEEENSH_IJLi2EEEEEEENS7_IJNSH_IJLi1ELi2EEEENSH_IJLi3EEEENSH_IJLi4EEEEEEENSH_IJLi3ELi4EEEElEESR_SR_Li1ELi256ELi256ELi256ELi128ELi32ELi8ELi8ELi16ELi16ELi8ELi2ENSH_IJLi4ELi64ELi1EEEENSH_IJLi1ELi0ELi2EEEEST_Li2ELi8ELi8ELb0ELi1ESS_ST_ST_Li2ELi8ELi8ELb0ELi1ELi1ELi1ENSH_IJLi1ELi32ELi1ELi8EEEELi4EEEDF16_DF16_S4_S4_S4_NS6_INS7_IJSD_SF_SF_NS_7UnMergeINS7_IJiNSA_IiLi8EEEEEELb0EEESF_EEENS7_IJSI_SJ_SK_SO_SN_EEENS7_IJSM_SN_SO_NSH_IJLi5ELi6EEEENSH_IJLi7EEEEEEENSH_IJLi5ELi7ELi6EEEElEES16_NS6_INS7_IJSD_SF_SF_NSW_INS7_IJiNSA_IiLi256EEEEEELb0EEENSW_INS7_IJiNSA_IiLi128EEEEEELb0EEEEEENS7_IJSI_SJ_SK_SN_SO_EEENS7_IJSM_SN_SO_S12_NSH_IJLi7ELi8EEEEEEENSH_IJLi5ELi6ELi7ELi8EEEElEENS_13TensorAdaptorINS7_IJNSW_ISC_Lb0EEES1K_NS_23Merge_v2_magic_divisionINS7_IJiiSB_SB_EEEEEEEENS7_IJSI_SJ_NSH_IJLi2ELi3ELi4ELi5EEEEEEENS7_IJNSH_IJLi2ELi4EEEENSH_IJLi3ELi5EEEENSH_IJLi6EEEEEEENSH_IJLi0ELi1EEEES1T_EELb0EEEvPKT0_S1Z_PT1_T2_T3_T4_T5_T6_T7_T8_,@function
_ZN2ck37kernel_gemm_xdl_waveletmodel_cshuffleINS_53GridwiseGemm_k0mk1_k0nk1_mn_xdl_waveletmodel_cshuffleIDF16_fDF16_DF16_NS_16tensor_operation12element_wise11PassThroughES4_S4_LNS_25InMemoryDataOperationEnumE0ENS_16TensorDescriptorINS_5TupleIJNS_5EmbedINS7_IJiiEEENS7_IJiNS_17integral_constantIiLi1EEEEEELb0EEENS_11PassThroughIiEESF_EEENS7_IJNS_8SequenceIJLi0EEEENSH_IJLi1EEEENSH_IJLi2EEEEEEENS7_IJNSH_IJLi1ELi2EEEENSH_IJLi3EEEENSH_IJLi4EEEEEEENSH_IJLi3ELi4EEEElEESR_SR_Li1ELi256ELi256ELi256ELi128ELi32ELi8ELi8ELi16ELi16ELi8ELi2ENSH_IJLi4ELi64ELi1EEEENSH_IJLi1ELi0ELi2EEEEST_Li2ELi8ELi8ELb0ELi1ESS_ST_ST_Li2ELi8ELi8ELb0ELi1ELi1ELi1ENSH_IJLi1ELi32ELi1ELi8EEEELi4EEEDF16_DF16_S4_S4_S4_NS6_INS7_IJSD_SF_SF_NS_7UnMergeINS7_IJiNSA_IiLi8EEEEEELb0EEESF_EEENS7_IJSI_SJ_SK_SO_SN_EEENS7_IJSM_SN_SO_NSH_IJLi5ELi6EEEENSH_IJLi7EEEEEEENSH_IJLi5ELi7ELi6EEEElEES16_NS6_INS7_IJSD_SF_SF_NSW_INS7_IJiNSA_IiLi256EEEEEELb0EEENSW_INS7_IJiNSA_IiLi128EEEEEELb0EEEEEENS7_IJSI_SJ_SK_SN_SO_EEENS7_IJSM_SN_SO_S12_NSH_IJLi7ELi8EEEEEEENSH_IJLi5ELi6ELi7ELi8EEEElEENS_13TensorAdaptorINS7_IJNSW_ISC_Lb0EEES1K_NS_23Merge_v2_magic_divisionINS7_IJiiSB_SB_EEEEEEEENS7_IJSI_SJ_NSH_IJLi2ELi3ELi4ELi5EEEEEEENS7_IJNSH_IJLi2ELi4EEEENSH_IJLi3ELi5EEEENSH_IJLi6EEEEEEENSH_IJLi0ELi1EEEES1T_EELb0EEEvPKT0_S1Z_PT1_T2_T3_T4_T5_T6_T7_T8_: ; @_ZN2ck37kernel_gemm_xdl_waveletmodel_cshuffleINS_53GridwiseGemm_k0mk1_k0nk1_mn_xdl_waveletmodel_cshuffleIDF16_fDF16_DF16_NS_16tensor_operation12element_wise11PassThroughES4_S4_LNS_25InMemoryDataOperationEnumE0ENS_16TensorDescriptorINS_5TupleIJNS_5EmbedINS7_IJiiEEENS7_IJiNS_17integral_constantIiLi1EEEEEELb0EEENS_11PassThroughIiEESF_EEENS7_IJNS_8SequenceIJLi0EEEENSH_IJLi1EEEENSH_IJLi2EEEEEEENS7_IJNSH_IJLi1ELi2EEEENSH_IJLi3EEEENSH_IJLi4EEEEEEENSH_IJLi3ELi4EEEElEESR_SR_Li1ELi256ELi256ELi256ELi128ELi32ELi8ELi8ELi16ELi16ELi8ELi2ENSH_IJLi4ELi64ELi1EEEENSH_IJLi1ELi0ELi2EEEEST_Li2ELi8ELi8ELb0ELi1ESS_ST_ST_Li2ELi8ELi8ELb0ELi1ELi1ELi1ENSH_IJLi1ELi32ELi1ELi8EEEELi4EEEDF16_DF16_S4_S4_S4_NS6_INS7_IJSD_SF_SF_NS_7UnMergeINS7_IJiNSA_IiLi8EEEEEELb0EEESF_EEENS7_IJSI_SJ_SK_SO_SN_EEENS7_IJSM_SN_SO_NSH_IJLi5ELi6EEEENSH_IJLi7EEEEEEENSH_IJLi5ELi7ELi6EEEElEES16_NS6_INS7_IJSD_SF_SF_NSW_INS7_IJiNSA_IiLi256EEEEEELb0EEENSW_INS7_IJiNSA_IiLi128EEEEEELb0EEEEEENS7_IJSI_SJ_SK_SN_SO_EEENS7_IJSM_SN_SO_S12_NSH_IJLi7ELi8EEEEEEENSH_IJLi5ELi6ELi7ELi8EEEElEENS_13TensorAdaptorINS7_IJNSW_ISC_Lb0EEES1K_NS_23Merge_v2_magic_divisionINS7_IJiiSB_SB_EEEEEEEENS7_IJSI_SJ_NSH_IJLi2ELi3ELi4ELi5EEEEEEENS7_IJNSH_IJLi2ELi4EEEENSH_IJLi3ELi5EEEENSH_IJLi6EEEEEEENSH_IJLi0ELi1EEEES1T_EELb0EEEvPKT0_S1Z_PT1_T2_T3_T4_T5_T6_T7_T8_
; %bb.0:
	s_endpgm
	.section	.rodata,"a",@progbits
	.p2align	6, 0x0
	.amdhsa_kernel _ZN2ck37kernel_gemm_xdl_waveletmodel_cshuffleINS_53GridwiseGemm_k0mk1_k0nk1_mn_xdl_waveletmodel_cshuffleIDF16_fDF16_DF16_NS_16tensor_operation12element_wise11PassThroughES4_S4_LNS_25InMemoryDataOperationEnumE0ENS_16TensorDescriptorINS_5TupleIJNS_5EmbedINS7_IJiiEEENS7_IJiNS_17integral_constantIiLi1EEEEEELb0EEENS_11PassThroughIiEESF_EEENS7_IJNS_8SequenceIJLi0EEEENSH_IJLi1EEEENSH_IJLi2EEEEEEENS7_IJNSH_IJLi1ELi2EEEENSH_IJLi3EEEENSH_IJLi4EEEEEEENSH_IJLi3ELi4EEEElEESR_SR_Li1ELi256ELi256ELi256ELi128ELi32ELi8ELi8ELi16ELi16ELi8ELi2ENSH_IJLi4ELi64ELi1EEEENSH_IJLi1ELi0ELi2EEEEST_Li2ELi8ELi8ELb0ELi1ESS_ST_ST_Li2ELi8ELi8ELb0ELi1ELi1ELi1ENSH_IJLi1ELi32ELi1ELi8EEEELi4EEEDF16_DF16_S4_S4_S4_NS6_INS7_IJSD_SF_SF_NS_7UnMergeINS7_IJiNSA_IiLi8EEEEEELb0EEESF_EEENS7_IJSI_SJ_SK_SO_SN_EEENS7_IJSM_SN_SO_NSH_IJLi5ELi6EEEENSH_IJLi7EEEEEEENSH_IJLi5ELi7ELi6EEEElEES16_NS6_INS7_IJSD_SF_SF_NSW_INS7_IJiNSA_IiLi256EEEEEELb0EEENSW_INS7_IJiNSA_IiLi128EEEEEELb0EEEEEENS7_IJSI_SJ_SK_SN_SO_EEENS7_IJSM_SN_SO_S12_NSH_IJLi7ELi8EEEEEEENSH_IJLi5ELi6ELi7ELi8EEEElEENS_13TensorAdaptorINS7_IJNSW_ISC_Lb0EEES1K_NS_23Merge_v2_magic_divisionINS7_IJiiSB_SB_EEEEEEEENS7_IJSI_SJ_NSH_IJLi2ELi3ELi4ELi5EEEEEEENS7_IJNSH_IJLi2ELi4EEEENSH_IJLi3ELi5EEEENSH_IJLi6EEEEEEENSH_IJLi0ELi1EEEES1T_EELb0EEEvPKT0_S1Z_PT1_T2_T3_T4_T5_T6_T7_T8_
		.amdhsa_group_segment_fixed_size 0
		.amdhsa_private_segment_fixed_size 0
		.amdhsa_kernarg_size 276
		.amdhsa_user_sgpr_count 6
		.amdhsa_user_sgpr_private_segment_buffer 1
		.amdhsa_user_sgpr_dispatch_ptr 0
		.amdhsa_user_sgpr_queue_ptr 0
		.amdhsa_user_sgpr_kernarg_segment_ptr 1
		.amdhsa_user_sgpr_dispatch_id 0
		.amdhsa_user_sgpr_flat_scratch_init 0
		.amdhsa_user_sgpr_private_segment_size 0
		.amdhsa_uses_dynamic_stack 0
		.amdhsa_system_sgpr_private_segment_wavefront_offset 0
		.amdhsa_system_sgpr_workgroup_id_x 1
		.amdhsa_system_sgpr_workgroup_id_y 0
		.amdhsa_system_sgpr_workgroup_id_z 0
		.amdhsa_system_sgpr_workgroup_info 0
		.amdhsa_system_vgpr_workitem_id 0
		.amdhsa_next_free_vgpr 1
		.amdhsa_next_free_sgpr 0
		.amdhsa_reserve_vcc 0
		.amdhsa_reserve_flat_scratch 0
		.amdhsa_float_round_mode_32 0
		.amdhsa_float_round_mode_16_64 0
		.amdhsa_float_denorm_mode_32 3
		.amdhsa_float_denorm_mode_16_64 3
		.amdhsa_dx10_clamp 1
		.amdhsa_ieee_mode 1
		.amdhsa_fp16_overflow 0
		.amdhsa_exception_fp_ieee_invalid_op 0
		.amdhsa_exception_fp_denorm_src 0
		.amdhsa_exception_fp_ieee_div_zero 0
		.amdhsa_exception_fp_ieee_overflow 0
		.amdhsa_exception_fp_ieee_underflow 0
		.amdhsa_exception_fp_ieee_inexact 0
		.amdhsa_exception_int_div_zero 0
	.end_amdhsa_kernel
	.section	.text._ZN2ck37kernel_gemm_xdl_waveletmodel_cshuffleINS_53GridwiseGemm_k0mk1_k0nk1_mn_xdl_waveletmodel_cshuffleIDF16_fDF16_DF16_NS_16tensor_operation12element_wise11PassThroughES4_S4_LNS_25InMemoryDataOperationEnumE0ENS_16TensorDescriptorINS_5TupleIJNS_5EmbedINS7_IJiiEEENS7_IJiNS_17integral_constantIiLi1EEEEEELb0EEENS_11PassThroughIiEESF_EEENS7_IJNS_8SequenceIJLi0EEEENSH_IJLi1EEEENSH_IJLi2EEEEEEENS7_IJNSH_IJLi1ELi2EEEENSH_IJLi3EEEENSH_IJLi4EEEEEEENSH_IJLi3ELi4EEEElEESR_SR_Li1ELi256ELi256ELi256ELi128ELi32ELi8ELi8ELi16ELi16ELi8ELi2ENSH_IJLi4ELi64ELi1EEEENSH_IJLi1ELi0ELi2EEEEST_Li2ELi8ELi8ELb0ELi1ESS_ST_ST_Li2ELi8ELi8ELb0ELi1ELi1ELi1ENSH_IJLi1ELi32ELi1ELi8EEEELi4EEEDF16_DF16_S4_S4_S4_NS6_INS7_IJSD_SF_SF_NS_7UnMergeINS7_IJiNSA_IiLi8EEEEEELb0EEESF_EEENS7_IJSI_SJ_SK_SO_SN_EEENS7_IJSM_SN_SO_NSH_IJLi5ELi6EEEENSH_IJLi7EEEEEEENSH_IJLi5ELi7ELi6EEEElEES16_NS6_INS7_IJSD_SF_SF_NSW_INS7_IJiNSA_IiLi256EEEEEELb0EEENSW_INS7_IJiNSA_IiLi128EEEEEELb0EEEEEENS7_IJSI_SJ_SK_SN_SO_EEENS7_IJSM_SN_SO_S12_NSH_IJLi7ELi8EEEEEEENSH_IJLi5ELi6ELi7ELi8EEEElEENS_13TensorAdaptorINS7_IJNSW_ISC_Lb0EEES1K_NS_23Merge_v2_magic_divisionINS7_IJiiSB_SB_EEEEEEEENS7_IJSI_SJ_NSH_IJLi2ELi3ELi4ELi5EEEEEEENS7_IJNSH_IJLi2ELi4EEEENSH_IJLi3ELi5EEEENSH_IJLi6EEEEEEENSH_IJLi0ELi1EEEES1T_EELb0EEEvPKT0_S1Z_PT1_T2_T3_T4_T5_T6_T7_T8_,"axG",@progbits,_ZN2ck37kernel_gemm_xdl_waveletmodel_cshuffleINS_53GridwiseGemm_k0mk1_k0nk1_mn_xdl_waveletmodel_cshuffleIDF16_fDF16_DF16_NS_16tensor_operation12element_wise11PassThroughES4_S4_LNS_25InMemoryDataOperationEnumE0ENS_16TensorDescriptorINS_5TupleIJNS_5EmbedINS7_IJiiEEENS7_IJiNS_17integral_constantIiLi1EEEEEELb0EEENS_11PassThroughIiEESF_EEENS7_IJNS_8SequenceIJLi0EEEENSH_IJLi1EEEENSH_IJLi2EEEEEEENS7_IJNSH_IJLi1ELi2EEEENSH_IJLi3EEEENSH_IJLi4EEEEEEENSH_IJLi3ELi4EEEElEESR_SR_Li1ELi256ELi256ELi256ELi128ELi32ELi8ELi8ELi16ELi16ELi8ELi2ENSH_IJLi4ELi64ELi1EEEENSH_IJLi1ELi0ELi2EEEEST_Li2ELi8ELi8ELb0ELi1ESS_ST_ST_Li2ELi8ELi8ELb0ELi1ELi1ELi1ENSH_IJLi1ELi32ELi1ELi8EEEELi4EEEDF16_DF16_S4_S4_S4_NS6_INS7_IJSD_SF_SF_NS_7UnMergeINS7_IJiNSA_IiLi8EEEEEELb0EEESF_EEENS7_IJSI_SJ_SK_SO_SN_EEENS7_IJSM_SN_SO_NSH_IJLi5ELi6EEEENSH_IJLi7EEEEEEENSH_IJLi5ELi7ELi6EEEElEES16_NS6_INS7_IJSD_SF_SF_NSW_INS7_IJiNSA_IiLi256EEEEEELb0EEENSW_INS7_IJiNSA_IiLi128EEEEEELb0EEEEEENS7_IJSI_SJ_SK_SN_SO_EEENS7_IJSM_SN_SO_S12_NSH_IJLi7ELi8EEEEEEENSH_IJLi5ELi6ELi7ELi8EEEElEENS_13TensorAdaptorINS7_IJNSW_ISC_Lb0EEES1K_NS_23Merge_v2_magic_divisionINS7_IJiiSB_SB_EEEEEEEENS7_IJSI_SJ_NSH_IJLi2ELi3ELi4ELi5EEEEEEENS7_IJNSH_IJLi2ELi4EEEENSH_IJLi3ELi5EEEENSH_IJLi6EEEEEEENSH_IJLi0ELi1EEEES1T_EELb0EEEvPKT0_S1Z_PT1_T2_T3_T4_T5_T6_T7_T8_,comdat
.Lfunc_end4:
	.size	_ZN2ck37kernel_gemm_xdl_waveletmodel_cshuffleINS_53GridwiseGemm_k0mk1_k0nk1_mn_xdl_waveletmodel_cshuffleIDF16_fDF16_DF16_NS_16tensor_operation12element_wise11PassThroughES4_S4_LNS_25InMemoryDataOperationEnumE0ENS_16TensorDescriptorINS_5TupleIJNS_5EmbedINS7_IJiiEEENS7_IJiNS_17integral_constantIiLi1EEEEEELb0EEENS_11PassThroughIiEESF_EEENS7_IJNS_8SequenceIJLi0EEEENSH_IJLi1EEEENSH_IJLi2EEEEEEENS7_IJNSH_IJLi1ELi2EEEENSH_IJLi3EEEENSH_IJLi4EEEEEEENSH_IJLi3ELi4EEEElEESR_SR_Li1ELi256ELi256ELi256ELi128ELi32ELi8ELi8ELi16ELi16ELi8ELi2ENSH_IJLi4ELi64ELi1EEEENSH_IJLi1ELi0ELi2EEEEST_Li2ELi8ELi8ELb0ELi1ESS_ST_ST_Li2ELi8ELi8ELb0ELi1ELi1ELi1ENSH_IJLi1ELi32ELi1ELi8EEEELi4EEEDF16_DF16_S4_S4_S4_NS6_INS7_IJSD_SF_SF_NS_7UnMergeINS7_IJiNSA_IiLi8EEEEEELb0EEESF_EEENS7_IJSI_SJ_SK_SO_SN_EEENS7_IJSM_SN_SO_NSH_IJLi5ELi6EEEENSH_IJLi7EEEEEEENSH_IJLi5ELi7ELi6EEEElEES16_NS6_INS7_IJSD_SF_SF_NSW_INS7_IJiNSA_IiLi256EEEEEELb0EEENSW_INS7_IJiNSA_IiLi128EEEEEELb0EEEEEENS7_IJSI_SJ_SK_SN_SO_EEENS7_IJSM_SN_SO_S12_NSH_IJLi7ELi8EEEEEEENSH_IJLi5ELi6ELi7ELi8EEEElEENS_13TensorAdaptorINS7_IJNSW_ISC_Lb0EEES1K_NS_23Merge_v2_magic_divisionINS7_IJiiSB_SB_EEEEEEEENS7_IJSI_SJ_NSH_IJLi2ELi3ELi4ELi5EEEEEEENS7_IJNSH_IJLi2ELi4EEEENSH_IJLi3ELi5EEEENSH_IJLi6EEEEEEENSH_IJLi0ELi1EEEES1T_EELb0EEEvPKT0_S1Z_PT1_T2_T3_T4_T5_T6_T7_T8_, .Lfunc_end4-_ZN2ck37kernel_gemm_xdl_waveletmodel_cshuffleINS_53GridwiseGemm_k0mk1_k0nk1_mn_xdl_waveletmodel_cshuffleIDF16_fDF16_DF16_NS_16tensor_operation12element_wise11PassThroughES4_S4_LNS_25InMemoryDataOperationEnumE0ENS_16TensorDescriptorINS_5TupleIJNS_5EmbedINS7_IJiiEEENS7_IJiNS_17integral_constantIiLi1EEEEEELb0EEENS_11PassThroughIiEESF_EEENS7_IJNS_8SequenceIJLi0EEEENSH_IJLi1EEEENSH_IJLi2EEEEEEENS7_IJNSH_IJLi1ELi2EEEENSH_IJLi3EEEENSH_IJLi4EEEEEEENSH_IJLi3ELi4EEEElEESR_SR_Li1ELi256ELi256ELi256ELi128ELi32ELi8ELi8ELi16ELi16ELi8ELi2ENSH_IJLi4ELi64ELi1EEEENSH_IJLi1ELi0ELi2EEEEST_Li2ELi8ELi8ELb0ELi1ESS_ST_ST_Li2ELi8ELi8ELb0ELi1ELi1ELi1ENSH_IJLi1ELi32ELi1ELi8EEEELi4EEEDF16_DF16_S4_S4_S4_NS6_INS7_IJSD_SF_SF_NS_7UnMergeINS7_IJiNSA_IiLi8EEEEEELb0EEESF_EEENS7_IJSI_SJ_SK_SO_SN_EEENS7_IJSM_SN_SO_NSH_IJLi5ELi6EEEENSH_IJLi7EEEEEEENSH_IJLi5ELi7ELi6EEEElEES16_NS6_INS7_IJSD_SF_SF_NSW_INS7_IJiNSA_IiLi256EEEEEELb0EEENSW_INS7_IJiNSA_IiLi128EEEEEELb0EEEEEENS7_IJSI_SJ_SK_SN_SO_EEENS7_IJSM_SN_SO_S12_NSH_IJLi7ELi8EEEEEEENSH_IJLi5ELi6ELi7ELi8EEEElEENS_13TensorAdaptorINS7_IJNSW_ISC_Lb0EEES1K_NS_23Merge_v2_magic_divisionINS7_IJiiSB_SB_EEEEEEEENS7_IJSI_SJ_NSH_IJLi2ELi3ELi4ELi5EEEEEEENS7_IJNSH_IJLi2ELi4EEEENSH_IJLi3ELi5EEEENSH_IJLi6EEEEEEENSH_IJLi0ELi1EEEES1T_EELb0EEEvPKT0_S1Z_PT1_T2_T3_T4_T5_T6_T7_T8_
                                        ; -- End function
	.set _ZN2ck37kernel_gemm_xdl_waveletmodel_cshuffleINS_53GridwiseGemm_k0mk1_k0nk1_mn_xdl_waveletmodel_cshuffleIDF16_fDF16_DF16_NS_16tensor_operation12element_wise11PassThroughES4_S4_LNS_25InMemoryDataOperationEnumE0ENS_16TensorDescriptorINS_5TupleIJNS_5EmbedINS7_IJiiEEENS7_IJiNS_17integral_constantIiLi1EEEEEELb0EEENS_11PassThroughIiEESF_EEENS7_IJNS_8SequenceIJLi0EEEENSH_IJLi1EEEENSH_IJLi2EEEEEEENS7_IJNSH_IJLi1ELi2EEEENSH_IJLi3EEEENSH_IJLi4EEEEEEENSH_IJLi3ELi4EEEElEESR_SR_Li1ELi256ELi256ELi256ELi128ELi32ELi8ELi8ELi16ELi16ELi8ELi2ENSH_IJLi4ELi64ELi1EEEENSH_IJLi1ELi0ELi2EEEEST_Li2ELi8ELi8ELb0ELi1ESS_ST_ST_Li2ELi8ELi8ELb0ELi1ELi1ELi1ENSH_IJLi1ELi32ELi1ELi8EEEELi4EEEDF16_DF16_S4_S4_S4_NS6_INS7_IJSD_SF_SF_NS_7UnMergeINS7_IJiNSA_IiLi8EEEEEELb0EEESF_EEENS7_IJSI_SJ_SK_SO_SN_EEENS7_IJSM_SN_SO_NSH_IJLi5ELi6EEEENSH_IJLi7EEEEEEENSH_IJLi5ELi7ELi6EEEElEES16_NS6_INS7_IJSD_SF_SF_NSW_INS7_IJiNSA_IiLi256EEEEEELb0EEENSW_INS7_IJiNSA_IiLi128EEEEEELb0EEEEEENS7_IJSI_SJ_SK_SN_SO_EEENS7_IJSM_SN_SO_S12_NSH_IJLi7ELi8EEEEEEENSH_IJLi5ELi6ELi7ELi8EEEElEENS_13TensorAdaptorINS7_IJNSW_ISC_Lb0EEES1K_NS_23Merge_v2_magic_divisionINS7_IJiiSB_SB_EEEEEEEENS7_IJSI_SJ_NSH_IJLi2ELi3ELi4ELi5EEEEEEENS7_IJNSH_IJLi2ELi4EEEENSH_IJLi3ELi5EEEENSH_IJLi6EEEEEEENSH_IJLi0ELi1EEEES1T_EELb0EEEvPKT0_S1Z_PT1_T2_T3_T4_T5_T6_T7_T8_.num_vgpr, 0
	.set _ZN2ck37kernel_gemm_xdl_waveletmodel_cshuffleINS_53GridwiseGemm_k0mk1_k0nk1_mn_xdl_waveletmodel_cshuffleIDF16_fDF16_DF16_NS_16tensor_operation12element_wise11PassThroughES4_S4_LNS_25InMemoryDataOperationEnumE0ENS_16TensorDescriptorINS_5TupleIJNS_5EmbedINS7_IJiiEEENS7_IJiNS_17integral_constantIiLi1EEEEEELb0EEENS_11PassThroughIiEESF_EEENS7_IJNS_8SequenceIJLi0EEEENSH_IJLi1EEEENSH_IJLi2EEEEEEENS7_IJNSH_IJLi1ELi2EEEENSH_IJLi3EEEENSH_IJLi4EEEEEEENSH_IJLi3ELi4EEEElEESR_SR_Li1ELi256ELi256ELi256ELi128ELi32ELi8ELi8ELi16ELi16ELi8ELi2ENSH_IJLi4ELi64ELi1EEEENSH_IJLi1ELi0ELi2EEEEST_Li2ELi8ELi8ELb0ELi1ESS_ST_ST_Li2ELi8ELi8ELb0ELi1ELi1ELi1ENSH_IJLi1ELi32ELi1ELi8EEEELi4EEEDF16_DF16_S4_S4_S4_NS6_INS7_IJSD_SF_SF_NS_7UnMergeINS7_IJiNSA_IiLi8EEEEEELb0EEESF_EEENS7_IJSI_SJ_SK_SO_SN_EEENS7_IJSM_SN_SO_NSH_IJLi5ELi6EEEENSH_IJLi7EEEEEEENSH_IJLi5ELi7ELi6EEEElEES16_NS6_INS7_IJSD_SF_SF_NSW_INS7_IJiNSA_IiLi256EEEEEELb0EEENSW_INS7_IJiNSA_IiLi128EEEEEELb0EEEEEENS7_IJSI_SJ_SK_SN_SO_EEENS7_IJSM_SN_SO_S12_NSH_IJLi7ELi8EEEEEEENSH_IJLi5ELi6ELi7ELi8EEEElEENS_13TensorAdaptorINS7_IJNSW_ISC_Lb0EEES1K_NS_23Merge_v2_magic_divisionINS7_IJiiSB_SB_EEEEEEEENS7_IJSI_SJ_NSH_IJLi2ELi3ELi4ELi5EEEEEEENS7_IJNSH_IJLi2ELi4EEEENSH_IJLi3ELi5EEEENSH_IJLi6EEEEEEENSH_IJLi0ELi1EEEES1T_EELb0EEEvPKT0_S1Z_PT1_T2_T3_T4_T5_T6_T7_T8_.num_agpr, 0
	.set _ZN2ck37kernel_gemm_xdl_waveletmodel_cshuffleINS_53GridwiseGemm_k0mk1_k0nk1_mn_xdl_waveletmodel_cshuffleIDF16_fDF16_DF16_NS_16tensor_operation12element_wise11PassThroughES4_S4_LNS_25InMemoryDataOperationEnumE0ENS_16TensorDescriptorINS_5TupleIJNS_5EmbedINS7_IJiiEEENS7_IJiNS_17integral_constantIiLi1EEEEEELb0EEENS_11PassThroughIiEESF_EEENS7_IJNS_8SequenceIJLi0EEEENSH_IJLi1EEEENSH_IJLi2EEEEEEENS7_IJNSH_IJLi1ELi2EEEENSH_IJLi3EEEENSH_IJLi4EEEEEEENSH_IJLi3ELi4EEEElEESR_SR_Li1ELi256ELi256ELi256ELi128ELi32ELi8ELi8ELi16ELi16ELi8ELi2ENSH_IJLi4ELi64ELi1EEEENSH_IJLi1ELi0ELi2EEEEST_Li2ELi8ELi8ELb0ELi1ESS_ST_ST_Li2ELi8ELi8ELb0ELi1ELi1ELi1ENSH_IJLi1ELi32ELi1ELi8EEEELi4EEEDF16_DF16_S4_S4_S4_NS6_INS7_IJSD_SF_SF_NS_7UnMergeINS7_IJiNSA_IiLi8EEEEEELb0EEESF_EEENS7_IJSI_SJ_SK_SO_SN_EEENS7_IJSM_SN_SO_NSH_IJLi5ELi6EEEENSH_IJLi7EEEEEEENSH_IJLi5ELi7ELi6EEEElEES16_NS6_INS7_IJSD_SF_SF_NSW_INS7_IJiNSA_IiLi256EEEEEELb0EEENSW_INS7_IJiNSA_IiLi128EEEEEELb0EEEEEENS7_IJSI_SJ_SK_SN_SO_EEENS7_IJSM_SN_SO_S12_NSH_IJLi7ELi8EEEEEEENSH_IJLi5ELi6ELi7ELi8EEEElEENS_13TensorAdaptorINS7_IJNSW_ISC_Lb0EEES1K_NS_23Merge_v2_magic_divisionINS7_IJiiSB_SB_EEEEEEEENS7_IJSI_SJ_NSH_IJLi2ELi3ELi4ELi5EEEEEEENS7_IJNSH_IJLi2ELi4EEEENSH_IJLi3ELi5EEEENSH_IJLi6EEEEEEENSH_IJLi0ELi1EEEES1T_EELb0EEEvPKT0_S1Z_PT1_T2_T3_T4_T5_T6_T7_T8_.numbered_sgpr, 0
	.set _ZN2ck37kernel_gemm_xdl_waveletmodel_cshuffleINS_53GridwiseGemm_k0mk1_k0nk1_mn_xdl_waveletmodel_cshuffleIDF16_fDF16_DF16_NS_16tensor_operation12element_wise11PassThroughES4_S4_LNS_25InMemoryDataOperationEnumE0ENS_16TensorDescriptorINS_5TupleIJNS_5EmbedINS7_IJiiEEENS7_IJiNS_17integral_constantIiLi1EEEEEELb0EEENS_11PassThroughIiEESF_EEENS7_IJNS_8SequenceIJLi0EEEENSH_IJLi1EEEENSH_IJLi2EEEEEEENS7_IJNSH_IJLi1ELi2EEEENSH_IJLi3EEEENSH_IJLi4EEEEEEENSH_IJLi3ELi4EEEElEESR_SR_Li1ELi256ELi256ELi256ELi128ELi32ELi8ELi8ELi16ELi16ELi8ELi2ENSH_IJLi4ELi64ELi1EEEENSH_IJLi1ELi0ELi2EEEEST_Li2ELi8ELi8ELb0ELi1ESS_ST_ST_Li2ELi8ELi8ELb0ELi1ELi1ELi1ENSH_IJLi1ELi32ELi1ELi8EEEELi4EEEDF16_DF16_S4_S4_S4_NS6_INS7_IJSD_SF_SF_NS_7UnMergeINS7_IJiNSA_IiLi8EEEEEELb0EEESF_EEENS7_IJSI_SJ_SK_SO_SN_EEENS7_IJSM_SN_SO_NSH_IJLi5ELi6EEEENSH_IJLi7EEEEEEENSH_IJLi5ELi7ELi6EEEElEES16_NS6_INS7_IJSD_SF_SF_NSW_INS7_IJiNSA_IiLi256EEEEEELb0EEENSW_INS7_IJiNSA_IiLi128EEEEEELb0EEEEEENS7_IJSI_SJ_SK_SN_SO_EEENS7_IJSM_SN_SO_S12_NSH_IJLi7ELi8EEEEEEENSH_IJLi5ELi6ELi7ELi8EEEElEENS_13TensorAdaptorINS7_IJNSW_ISC_Lb0EEES1K_NS_23Merge_v2_magic_divisionINS7_IJiiSB_SB_EEEEEEEENS7_IJSI_SJ_NSH_IJLi2ELi3ELi4ELi5EEEEEEENS7_IJNSH_IJLi2ELi4EEEENSH_IJLi3ELi5EEEENSH_IJLi6EEEEEEENSH_IJLi0ELi1EEEES1T_EELb0EEEvPKT0_S1Z_PT1_T2_T3_T4_T5_T6_T7_T8_.num_named_barrier, 0
	.set _ZN2ck37kernel_gemm_xdl_waveletmodel_cshuffleINS_53GridwiseGemm_k0mk1_k0nk1_mn_xdl_waveletmodel_cshuffleIDF16_fDF16_DF16_NS_16tensor_operation12element_wise11PassThroughES4_S4_LNS_25InMemoryDataOperationEnumE0ENS_16TensorDescriptorINS_5TupleIJNS_5EmbedINS7_IJiiEEENS7_IJiNS_17integral_constantIiLi1EEEEEELb0EEENS_11PassThroughIiEESF_EEENS7_IJNS_8SequenceIJLi0EEEENSH_IJLi1EEEENSH_IJLi2EEEEEEENS7_IJNSH_IJLi1ELi2EEEENSH_IJLi3EEEENSH_IJLi4EEEEEEENSH_IJLi3ELi4EEEElEESR_SR_Li1ELi256ELi256ELi256ELi128ELi32ELi8ELi8ELi16ELi16ELi8ELi2ENSH_IJLi4ELi64ELi1EEEENSH_IJLi1ELi0ELi2EEEEST_Li2ELi8ELi8ELb0ELi1ESS_ST_ST_Li2ELi8ELi8ELb0ELi1ELi1ELi1ENSH_IJLi1ELi32ELi1ELi8EEEELi4EEEDF16_DF16_S4_S4_S4_NS6_INS7_IJSD_SF_SF_NS_7UnMergeINS7_IJiNSA_IiLi8EEEEEELb0EEESF_EEENS7_IJSI_SJ_SK_SO_SN_EEENS7_IJSM_SN_SO_NSH_IJLi5ELi6EEEENSH_IJLi7EEEEEEENSH_IJLi5ELi7ELi6EEEElEES16_NS6_INS7_IJSD_SF_SF_NSW_INS7_IJiNSA_IiLi256EEEEEELb0EEENSW_INS7_IJiNSA_IiLi128EEEEEELb0EEEEEENS7_IJSI_SJ_SK_SN_SO_EEENS7_IJSM_SN_SO_S12_NSH_IJLi7ELi8EEEEEEENSH_IJLi5ELi6ELi7ELi8EEEElEENS_13TensorAdaptorINS7_IJNSW_ISC_Lb0EEES1K_NS_23Merge_v2_magic_divisionINS7_IJiiSB_SB_EEEEEEEENS7_IJSI_SJ_NSH_IJLi2ELi3ELi4ELi5EEEEEEENS7_IJNSH_IJLi2ELi4EEEENSH_IJLi3ELi5EEEENSH_IJLi6EEEEEEENSH_IJLi0ELi1EEEES1T_EELb0EEEvPKT0_S1Z_PT1_T2_T3_T4_T5_T6_T7_T8_.private_seg_size, 0
	.set _ZN2ck37kernel_gemm_xdl_waveletmodel_cshuffleINS_53GridwiseGemm_k0mk1_k0nk1_mn_xdl_waveletmodel_cshuffleIDF16_fDF16_DF16_NS_16tensor_operation12element_wise11PassThroughES4_S4_LNS_25InMemoryDataOperationEnumE0ENS_16TensorDescriptorINS_5TupleIJNS_5EmbedINS7_IJiiEEENS7_IJiNS_17integral_constantIiLi1EEEEEELb0EEENS_11PassThroughIiEESF_EEENS7_IJNS_8SequenceIJLi0EEEENSH_IJLi1EEEENSH_IJLi2EEEEEEENS7_IJNSH_IJLi1ELi2EEEENSH_IJLi3EEEENSH_IJLi4EEEEEEENSH_IJLi3ELi4EEEElEESR_SR_Li1ELi256ELi256ELi256ELi128ELi32ELi8ELi8ELi16ELi16ELi8ELi2ENSH_IJLi4ELi64ELi1EEEENSH_IJLi1ELi0ELi2EEEEST_Li2ELi8ELi8ELb0ELi1ESS_ST_ST_Li2ELi8ELi8ELb0ELi1ELi1ELi1ENSH_IJLi1ELi32ELi1ELi8EEEELi4EEEDF16_DF16_S4_S4_S4_NS6_INS7_IJSD_SF_SF_NS_7UnMergeINS7_IJiNSA_IiLi8EEEEEELb0EEESF_EEENS7_IJSI_SJ_SK_SO_SN_EEENS7_IJSM_SN_SO_NSH_IJLi5ELi6EEEENSH_IJLi7EEEEEEENSH_IJLi5ELi7ELi6EEEElEES16_NS6_INS7_IJSD_SF_SF_NSW_INS7_IJiNSA_IiLi256EEEEEELb0EEENSW_INS7_IJiNSA_IiLi128EEEEEELb0EEEEEENS7_IJSI_SJ_SK_SN_SO_EEENS7_IJSM_SN_SO_S12_NSH_IJLi7ELi8EEEEEEENSH_IJLi5ELi6ELi7ELi8EEEElEENS_13TensorAdaptorINS7_IJNSW_ISC_Lb0EEES1K_NS_23Merge_v2_magic_divisionINS7_IJiiSB_SB_EEEEEEEENS7_IJSI_SJ_NSH_IJLi2ELi3ELi4ELi5EEEEEEENS7_IJNSH_IJLi2ELi4EEEENSH_IJLi3ELi5EEEENSH_IJLi6EEEEEEENSH_IJLi0ELi1EEEES1T_EELb0EEEvPKT0_S1Z_PT1_T2_T3_T4_T5_T6_T7_T8_.uses_vcc, 0
	.set _ZN2ck37kernel_gemm_xdl_waveletmodel_cshuffleINS_53GridwiseGemm_k0mk1_k0nk1_mn_xdl_waveletmodel_cshuffleIDF16_fDF16_DF16_NS_16tensor_operation12element_wise11PassThroughES4_S4_LNS_25InMemoryDataOperationEnumE0ENS_16TensorDescriptorINS_5TupleIJNS_5EmbedINS7_IJiiEEENS7_IJiNS_17integral_constantIiLi1EEEEEELb0EEENS_11PassThroughIiEESF_EEENS7_IJNS_8SequenceIJLi0EEEENSH_IJLi1EEEENSH_IJLi2EEEEEEENS7_IJNSH_IJLi1ELi2EEEENSH_IJLi3EEEENSH_IJLi4EEEEEEENSH_IJLi3ELi4EEEElEESR_SR_Li1ELi256ELi256ELi256ELi128ELi32ELi8ELi8ELi16ELi16ELi8ELi2ENSH_IJLi4ELi64ELi1EEEENSH_IJLi1ELi0ELi2EEEEST_Li2ELi8ELi8ELb0ELi1ESS_ST_ST_Li2ELi8ELi8ELb0ELi1ELi1ELi1ENSH_IJLi1ELi32ELi1ELi8EEEELi4EEEDF16_DF16_S4_S4_S4_NS6_INS7_IJSD_SF_SF_NS_7UnMergeINS7_IJiNSA_IiLi8EEEEEELb0EEESF_EEENS7_IJSI_SJ_SK_SO_SN_EEENS7_IJSM_SN_SO_NSH_IJLi5ELi6EEEENSH_IJLi7EEEEEEENSH_IJLi5ELi7ELi6EEEElEES16_NS6_INS7_IJSD_SF_SF_NSW_INS7_IJiNSA_IiLi256EEEEEELb0EEENSW_INS7_IJiNSA_IiLi128EEEEEELb0EEEEEENS7_IJSI_SJ_SK_SN_SO_EEENS7_IJSM_SN_SO_S12_NSH_IJLi7ELi8EEEEEEENSH_IJLi5ELi6ELi7ELi8EEEElEENS_13TensorAdaptorINS7_IJNSW_ISC_Lb0EEES1K_NS_23Merge_v2_magic_divisionINS7_IJiiSB_SB_EEEEEEEENS7_IJSI_SJ_NSH_IJLi2ELi3ELi4ELi5EEEEEEENS7_IJNSH_IJLi2ELi4EEEENSH_IJLi3ELi5EEEENSH_IJLi6EEEEEEENSH_IJLi0ELi1EEEES1T_EELb0EEEvPKT0_S1Z_PT1_T2_T3_T4_T5_T6_T7_T8_.uses_flat_scratch, 0
	.set _ZN2ck37kernel_gemm_xdl_waveletmodel_cshuffleINS_53GridwiseGemm_k0mk1_k0nk1_mn_xdl_waveletmodel_cshuffleIDF16_fDF16_DF16_NS_16tensor_operation12element_wise11PassThroughES4_S4_LNS_25InMemoryDataOperationEnumE0ENS_16TensorDescriptorINS_5TupleIJNS_5EmbedINS7_IJiiEEENS7_IJiNS_17integral_constantIiLi1EEEEEELb0EEENS_11PassThroughIiEESF_EEENS7_IJNS_8SequenceIJLi0EEEENSH_IJLi1EEEENSH_IJLi2EEEEEEENS7_IJNSH_IJLi1ELi2EEEENSH_IJLi3EEEENSH_IJLi4EEEEEEENSH_IJLi3ELi4EEEElEESR_SR_Li1ELi256ELi256ELi256ELi128ELi32ELi8ELi8ELi16ELi16ELi8ELi2ENSH_IJLi4ELi64ELi1EEEENSH_IJLi1ELi0ELi2EEEEST_Li2ELi8ELi8ELb0ELi1ESS_ST_ST_Li2ELi8ELi8ELb0ELi1ELi1ELi1ENSH_IJLi1ELi32ELi1ELi8EEEELi4EEEDF16_DF16_S4_S4_S4_NS6_INS7_IJSD_SF_SF_NS_7UnMergeINS7_IJiNSA_IiLi8EEEEEELb0EEESF_EEENS7_IJSI_SJ_SK_SO_SN_EEENS7_IJSM_SN_SO_NSH_IJLi5ELi6EEEENSH_IJLi7EEEEEEENSH_IJLi5ELi7ELi6EEEElEES16_NS6_INS7_IJSD_SF_SF_NSW_INS7_IJiNSA_IiLi256EEEEEELb0EEENSW_INS7_IJiNSA_IiLi128EEEEEELb0EEEEEENS7_IJSI_SJ_SK_SN_SO_EEENS7_IJSM_SN_SO_S12_NSH_IJLi7ELi8EEEEEEENSH_IJLi5ELi6ELi7ELi8EEEElEENS_13TensorAdaptorINS7_IJNSW_ISC_Lb0EEES1K_NS_23Merge_v2_magic_divisionINS7_IJiiSB_SB_EEEEEEEENS7_IJSI_SJ_NSH_IJLi2ELi3ELi4ELi5EEEEEEENS7_IJNSH_IJLi2ELi4EEEENSH_IJLi3ELi5EEEENSH_IJLi6EEEEEEENSH_IJLi0ELi1EEEES1T_EELb0EEEvPKT0_S1Z_PT1_T2_T3_T4_T5_T6_T7_T8_.has_dyn_sized_stack, 0
	.set _ZN2ck37kernel_gemm_xdl_waveletmodel_cshuffleINS_53GridwiseGemm_k0mk1_k0nk1_mn_xdl_waveletmodel_cshuffleIDF16_fDF16_DF16_NS_16tensor_operation12element_wise11PassThroughES4_S4_LNS_25InMemoryDataOperationEnumE0ENS_16TensorDescriptorINS_5TupleIJNS_5EmbedINS7_IJiiEEENS7_IJiNS_17integral_constantIiLi1EEEEEELb0EEENS_11PassThroughIiEESF_EEENS7_IJNS_8SequenceIJLi0EEEENSH_IJLi1EEEENSH_IJLi2EEEEEEENS7_IJNSH_IJLi1ELi2EEEENSH_IJLi3EEEENSH_IJLi4EEEEEEENSH_IJLi3ELi4EEEElEESR_SR_Li1ELi256ELi256ELi256ELi128ELi32ELi8ELi8ELi16ELi16ELi8ELi2ENSH_IJLi4ELi64ELi1EEEENSH_IJLi1ELi0ELi2EEEEST_Li2ELi8ELi8ELb0ELi1ESS_ST_ST_Li2ELi8ELi8ELb0ELi1ELi1ELi1ENSH_IJLi1ELi32ELi1ELi8EEEELi4EEEDF16_DF16_S4_S4_S4_NS6_INS7_IJSD_SF_SF_NS_7UnMergeINS7_IJiNSA_IiLi8EEEEEELb0EEESF_EEENS7_IJSI_SJ_SK_SO_SN_EEENS7_IJSM_SN_SO_NSH_IJLi5ELi6EEEENSH_IJLi7EEEEEEENSH_IJLi5ELi7ELi6EEEElEES16_NS6_INS7_IJSD_SF_SF_NSW_INS7_IJiNSA_IiLi256EEEEEELb0EEENSW_INS7_IJiNSA_IiLi128EEEEEELb0EEEEEENS7_IJSI_SJ_SK_SN_SO_EEENS7_IJSM_SN_SO_S12_NSH_IJLi7ELi8EEEEEEENSH_IJLi5ELi6ELi7ELi8EEEElEENS_13TensorAdaptorINS7_IJNSW_ISC_Lb0EEES1K_NS_23Merge_v2_magic_divisionINS7_IJiiSB_SB_EEEEEEEENS7_IJSI_SJ_NSH_IJLi2ELi3ELi4ELi5EEEEEEENS7_IJNSH_IJLi2ELi4EEEENSH_IJLi3ELi5EEEENSH_IJLi6EEEEEEENSH_IJLi0ELi1EEEES1T_EELb0EEEvPKT0_S1Z_PT1_T2_T3_T4_T5_T6_T7_T8_.has_recursion, 0
	.set _ZN2ck37kernel_gemm_xdl_waveletmodel_cshuffleINS_53GridwiseGemm_k0mk1_k0nk1_mn_xdl_waveletmodel_cshuffleIDF16_fDF16_DF16_NS_16tensor_operation12element_wise11PassThroughES4_S4_LNS_25InMemoryDataOperationEnumE0ENS_16TensorDescriptorINS_5TupleIJNS_5EmbedINS7_IJiiEEENS7_IJiNS_17integral_constantIiLi1EEEEEELb0EEENS_11PassThroughIiEESF_EEENS7_IJNS_8SequenceIJLi0EEEENSH_IJLi1EEEENSH_IJLi2EEEEEEENS7_IJNSH_IJLi1ELi2EEEENSH_IJLi3EEEENSH_IJLi4EEEEEEENSH_IJLi3ELi4EEEElEESR_SR_Li1ELi256ELi256ELi256ELi128ELi32ELi8ELi8ELi16ELi16ELi8ELi2ENSH_IJLi4ELi64ELi1EEEENSH_IJLi1ELi0ELi2EEEEST_Li2ELi8ELi8ELb0ELi1ESS_ST_ST_Li2ELi8ELi8ELb0ELi1ELi1ELi1ENSH_IJLi1ELi32ELi1ELi8EEEELi4EEEDF16_DF16_S4_S4_S4_NS6_INS7_IJSD_SF_SF_NS_7UnMergeINS7_IJiNSA_IiLi8EEEEEELb0EEESF_EEENS7_IJSI_SJ_SK_SO_SN_EEENS7_IJSM_SN_SO_NSH_IJLi5ELi6EEEENSH_IJLi7EEEEEEENSH_IJLi5ELi7ELi6EEEElEES16_NS6_INS7_IJSD_SF_SF_NSW_INS7_IJiNSA_IiLi256EEEEEELb0EEENSW_INS7_IJiNSA_IiLi128EEEEEELb0EEEEEENS7_IJSI_SJ_SK_SN_SO_EEENS7_IJSM_SN_SO_S12_NSH_IJLi7ELi8EEEEEEENSH_IJLi5ELi6ELi7ELi8EEEElEENS_13TensorAdaptorINS7_IJNSW_ISC_Lb0EEES1K_NS_23Merge_v2_magic_divisionINS7_IJiiSB_SB_EEEEEEEENS7_IJSI_SJ_NSH_IJLi2ELi3ELi4ELi5EEEEEEENS7_IJNSH_IJLi2ELi4EEEENSH_IJLi3ELi5EEEENSH_IJLi6EEEEEEENSH_IJLi0ELi1EEEES1T_EELb0EEEvPKT0_S1Z_PT1_T2_T3_T4_T5_T6_T7_T8_.has_indirect_call, 0
	.section	.AMDGPU.csdata,"",@progbits
; Kernel info:
; codeLenInByte = 4
; TotalNumSgprs: 4
; NumVgprs: 0
; ScratchSize: 0
; MemoryBound: 0
; FloatMode: 240
; IeeeMode: 1
; LDSByteSize: 0 bytes/workgroup (compile time only)
; SGPRBlocks: 0
; VGPRBlocks: 0
; NumSGPRsForWavesPerEU: 4
; NumVGPRsForWavesPerEU: 1
; Occupancy: 10
; WaveLimiterHint : 0
; COMPUTE_PGM_RSRC2:SCRATCH_EN: 0
; COMPUTE_PGM_RSRC2:USER_SGPR: 6
; COMPUTE_PGM_RSRC2:TRAP_HANDLER: 0
; COMPUTE_PGM_RSRC2:TGID_X_EN: 1
; COMPUTE_PGM_RSRC2:TGID_Y_EN: 0
; COMPUTE_PGM_RSRC2:TGID_Z_EN: 0
; COMPUTE_PGM_RSRC2:TIDIG_COMP_CNT: 0
	.section	.text._ZN2ck17naive_gemm_kernelINS_13tensor_layout4gemm8RowMajorENS2_11ColumnMajorES3_DF16_DF16_DF16_fNS_16tensor_operation12element_wise11PassThroughES7_S7_DF16_DF16_EEvPKT2_PKT3_PT4_iiiT6_T7_T8_,"axG",@progbits,_ZN2ck17naive_gemm_kernelINS_13tensor_layout4gemm8RowMajorENS2_11ColumnMajorES3_DF16_DF16_DF16_fNS_16tensor_operation12element_wise11PassThroughES7_S7_DF16_DF16_EEvPKT2_PKT3_PT4_iiiT6_T7_T8_,comdat
	.protected	_ZN2ck17naive_gemm_kernelINS_13tensor_layout4gemm8RowMajorENS2_11ColumnMajorES3_DF16_DF16_DF16_fNS_16tensor_operation12element_wise11PassThroughES7_S7_DF16_DF16_EEvPKT2_PKT3_PT4_iiiT6_T7_T8_ ; -- Begin function _ZN2ck17naive_gemm_kernelINS_13tensor_layout4gemm8RowMajorENS2_11ColumnMajorES3_DF16_DF16_DF16_fNS_16tensor_operation12element_wise11PassThroughES7_S7_DF16_DF16_EEvPKT2_PKT3_PT4_iiiT6_T7_T8_
	.globl	_ZN2ck17naive_gemm_kernelINS_13tensor_layout4gemm8RowMajorENS2_11ColumnMajorES3_DF16_DF16_DF16_fNS_16tensor_operation12element_wise11PassThroughES7_S7_DF16_DF16_EEvPKT2_PKT3_PT4_iiiT6_T7_T8_
	.p2align	8
	.type	_ZN2ck17naive_gemm_kernelINS_13tensor_layout4gemm8RowMajorENS2_11ColumnMajorES3_DF16_DF16_DF16_fNS_16tensor_operation12element_wise11PassThroughES7_S7_DF16_DF16_EEvPKT2_PKT3_PT4_iiiT6_T7_T8_,@function
_ZN2ck17naive_gemm_kernelINS_13tensor_layout4gemm8RowMajorENS2_11ColumnMajorES3_DF16_DF16_DF16_fNS_16tensor_operation12element_wise11PassThroughES7_S7_DF16_DF16_EEvPKT2_PKT3_PT4_iiiT6_T7_T8_: ; @_ZN2ck17naive_gemm_kernelINS_13tensor_layout4gemm8RowMajorENS2_11ColumnMajorES3_DF16_DF16_DF16_fNS_16tensor_operation12element_wise11PassThroughES7_S7_DF16_DF16_EEvPKT2_PKT3_PT4_iiiT6_T7_T8_
; %bb.0:
	s_load_dword s0, s[4:5], 0x34
	s_load_dwordx4 s[8:11], s[4:5], 0x18
	s_waitcnt lgkmcnt(0)
	s_lshr_b32 s1, s0, 16
	s_and_b32 s0, s0, 0xffff
	s_mul_i32 s6, s6, s0
	s_mul_i32 s7, s7, s1
	v_add_u32_e32 v5, s6, v0
	v_add_u32_e32 v0, s7, v1
	v_cmp_gt_i32_e32 vcc, s8, v5
	v_cmp_gt_i32_e64 s[0:1], s9, v0
	s_and_b64 s[0:1], vcc, s[0:1]
	s_and_saveexec_b64 s[2:3], s[0:1]
	s_cbranch_execz .LBB5_7
; %bb.1:
	s_load_dwordx2 s[0:1], s[4:5], 0x10
	s_cmp_lt_i32 s10, 1
	s_cbranch_scc1 .LBB5_5
; %bb.2:
	v_mul_lo_u32 v1, v0, s10
	s_load_dwordx4 s[4:7], s[4:5], 0x0
	v_mul_lo_u32 v3, v5, s10
	v_ashrrev_i32_e32 v2, 31, v1
	v_lshlrev_b64 v[1:2], 1, v[1:2]
	s_waitcnt lgkmcnt(0)
	v_mov_b32_e32 v4, s7
	v_add_co_u32_e32 v1, vcc, s6, v1
	v_addc_co_u32_e32 v2, vcc, v4, v2, vcc
	v_ashrrev_i32_e32 v4, 31, v3
	v_lshlrev_b64 v[3:4], 1, v[3:4]
	v_mov_b32_e32 v6, s5
	v_add_co_u32_e32 v3, vcc, s4, v3
	v_addc_co_u32_e32 v4, vcc, v6, v4, vcc
	v_mov_b32_e32 v6, 0
.LBB5_3:                                ; =>This Inner Loop Header: Depth=1
	global_load_ushort v7, v[3:4], off
	global_load_ushort v8, v[1:2], off
	v_add_co_u32_e32 v1, vcc, 2, v1
	v_addc_co_u32_e32 v2, vcc, 0, v2, vcc
	s_add_i32 s10, s10, -1
	v_add_co_u32_e32 v3, vcc, 2, v3
	v_addc_co_u32_e32 v4, vcc, 0, v4, vcc
	s_cmp_eq_u32 s10, 0
	s_waitcnt vmcnt(0)
	v_fma_mix_f32 v6, v7, v8, v6 op_sel_hi:[1,1,0]
	s_cbranch_scc0 .LBB5_3
; %bb.4:
	v_cvt_f16_f32_e32 v1, v6
	s_branch .LBB5_6
.LBB5_5:
	v_mov_b32_e32 v1, 0
.LBB5_6:
	v_mad_u64_u32 v[2:3], s[2:3], v5, s9, v[0:1]
	s_waitcnt lgkmcnt(0)
	v_mov_b32_e32 v0, s1
	v_ashrrev_i32_e32 v3, 31, v2
	v_lshlrev_b64 v[2:3], 1, v[2:3]
	v_add_co_u32_e32 v2, vcc, s0, v2
	v_addc_co_u32_e32 v3, vcc, v0, v3, vcc
	global_store_short v[2:3], v1, off
.LBB5_7:
	s_endpgm
	.section	.rodata,"a",@progbits
	.p2align	6, 0x0
	.amdhsa_kernel _ZN2ck17naive_gemm_kernelINS_13tensor_layout4gemm8RowMajorENS2_11ColumnMajorES3_DF16_DF16_DF16_fNS_16tensor_operation12element_wise11PassThroughES7_S7_DF16_DF16_EEvPKT2_PKT3_PT4_iiiT6_T7_T8_
		.amdhsa_group_segment_fixed_size 0
		.amdhsa_private_segment_fixed_size 0
		.amdhsa_kernarg_size 296
		.amdhsa_user_sgpr_count 6
		.amdhsa_user_sgpr_private_segment_buffer 1
		.amdhsa_user_sgpr_dispatch_ptr 0
		.amdhsa_user_sgpr_queue_ptr 0
		.amdhsa_user_sgpr_kernarg_segment_ptr 1
		.amdhsa_user_sgpr_dispatch_id 0
		.amdhsa_user_sgpr_flat_scratch_init 0
		.amdhsa_user_sgpr_private_segment_size 0
		.amdhsa_uses_dynamic_stack 0
		.amdhsa_system_sgpr_private_segment_wavefront_offset 0
		.amdhsa_system_sgpr_workgroup_id_x 1
		.amdhsa_system_sgpr_workgroup_id_y 1
		.amdhsa_system_sgpr_workgroup_id_z 0
		.amdhsa_system_sgpr_workgroup_info 0
		.amdhsa_system_vgpr_workitem_id 1
		.amdhsa_next_free_vgpr 9
		.amdhsa_next_free_sgpr 12
		.amdhsa_reserve_vcc 1
		.amdhsa_reserve_flat_scratch 0
		.amdhsa_float_round_mode_32 0
		.amdhsa_float_round_mode_16_64 0
		.amdhsa_float_denorm_mode_32 3
		.amdhsa_float_denorm_mode_16_64 3
		.amdhsa_dx10_clamp 1
		.amdhsa_ieee_mode 1
		.amdhsa_fp16_overflow 0
		.amdhsa_exception_fp_ieee_invalid_op 0
		.amdhsa_exception_fp_denorm_src 0
		.amdhsa_exception_fp_ieee_div_zero 0
		.amdhsa_exception_fp_ieee_overflow 0
		.amdhsa_exception_fp_ieee_underflow 0
		.amdhsa_exception_fp_ieee_inexact 0
		.amdhsa_exception_int_div_zero 0
	.end_amdhsa_kernel
	.section	.text._ZN2ck17naive_gemm_kernelINS_13tensor_layout4gemm8RowMajorENS2_11ColumnMajorES3_DF16_DF16_DF16_fNS_16tensor_operation12element_wise11PassThroughES7_S7_DF16_DF16_EEvPKT2_PKT3_PT4_iiiT6_T7_T8_,"axG",@progbits,_ZN2ck17naive_gemm_kernelINS_13tensor_layout4gemm8RowMajorENS2_11ColumnMajorES3_DF16_DF16_DF16_fNS_16tensor_operation12element_wise11PassThroughES7_S7_DF16_DF16_EEvPKT2_PKT3_PT4_iiiT6_T7_T8_,comdat
.Lfunc_end5:
	.size	_ZN2ck17naive_gemm_kernelINS_13tensor_layout4gemm8RowMajorENS2_11ColumnMajorES3_DF16_DF16_DF16_fNS_16tensor_operation12element_wise11PassThroughES7_S7_DF16_DF16_EEvPKT2_PKT3_PT4_iiiT6_T7_T8_, .Lfunc_end5-_ZN2ck17naive_gemm_kernelINS_13tensor_layout4gemm8RowMajorENS2_11ColumnMajorES3_DF16_DF16_DF16_fNS_16tensor_operation12element_wise11PassThroughES7_S7_DF16_DF16_EEvPKT2_PKT3_PT4_iiiT6_T7_T8_
                                        ; -- End function
	.set _ZN2ck17naive_gemm_kernelINS_13tensor_layout4gemm8RowMajorENS2_11ColumnMajorES3_DF16_DF16_DF16_fNS_16tensor_operation12element_wise11PassThroughES7_S7_DF16_DF16_EEvPKT2_PKT3_PT4_iiiT6_T7_T8_.num_vgpr, 9
	.set _ZN2ck17naive_gemm_kernelINS_13tensor_layout4gemm8RowMajorENS2_11ColumnMajorES3_DF16_DF16_DF16_fNS_16tensor_operation12element_wise11PassThroughES7_S7_DF16_DF16_EEvPKT2_PKT3_PT4_iiiT6_T7_T8_.num_agpr, 0
	.set _ZN2ck17naive_gemm_kernelINS_13tensor_layout4gemm8RowMajorENS2_11ColumnMajorES3_DF16_DF16_DF16_fNS_16tensor_operation12element_wise11PassThroughES7_S7_DF16_DF16_EEvPKT2_PKT3_PT4_iiiT6_T7_T8_.numbered_sgpr, 12
	.set _ZN2ck17naive_gemm_kernelINS_13tensor_layout4gemm8RowMajorENS2_11ColumnMajorES3_DF16_DF16_DF16_fNS_16tensor_operation12element_wise11PassThroughES7_S7_DF16_DF16_EEvPKT2_PKT3_PT4_iiiT6_T7_T8_.num_named_barrier, 0
	.set _ZN2ck17naive_gemm_kernelINS_13tensor_layout4gemm8RowMajorENS2_11ColumnMajorES3_DF16_DF16_DF16_fNS_16tensor_operation12element_wise11PassThroughES7_S7_DF16_DF16_EEvPKT2_PKT3_PT4_iiiT6_T7_T8_.private_seg_size, 0
	.set _ZN2ck17naive_gemm_kernelINS_13tensor_layout4gemm8RowMajorENS2_11ColumnMajorES3_DF16_DF16_DF16_fNS_16tensor_operation12element_wise11PassThroughES7_S7_DF16_DF16_EEvPKT2_PKT3_PT4_iiiT6_T7_T8_.uses_vcc, 1
	.set _ZN2ck17naive_gemm_kernelINS_13tensor_layout4gemm8RowMajorENS2_11ColumnMajorES3_DF16_DF16_DF16_fNS_16tensor_operation12element_wise11PassThroughES7_S7_DF16_DF16_EEvPKT2_PKT3_PT4_iiiT6_T7_T8_.uses_flat_scratch, 0
	.set _ZN2ck17naive_gemm_kernelINS_13tensor_layout4gemm8RowMajorENS2_11ColumnMajorES3_DF16_DF16_DF16_fNS_16tensor_operation12element_wise11PassThroughES7_S7_DF16_DF16_EEvPKT2_PKT3_PT4_iiiT6_T7_T8_.has_dyn_sized_stack, 0
	.set _ZN2ck17naive_gemm_kernelINS_13tensor_layout4gemm8RowMajorENS2_11ColumnMajorES3_DF16_DF16_DF16_fNS_16tensor_operation12element_wise11PassThroughES7_S7_DF16_DF16_EEvPKT2_PKT3_PT4_iiiT6_T7_T8_.has_recursion, 0
	.set _ZN2ck17naive_gemm_kernelINS_13tensor_layout4gemm8RowMajorENS2_11ColumnMajorES3_DF16_DF16_DF16_fNS_16tensor_operation12element_wise11PassThroughES7_S7_DF16_DF16_EEvPKT2_PKT3_PT4_iiiT6_T7_T8_.has_indirect_call, 0
	.section	.AMDGPU.csdata,"",@progbits
; Kernel info:
; codeLenInByte = 284
; TotalNumSgprs: 16
; NumVgprs: 9
; ScratchSize: 0
; MemoryBound: 0
; FloatMode: 240
; IeeeMode: 1
; LDSByteSize: 0 bytes/workgroup (compile time only)
; SGPRBlocks: 1
; VGPRBlocks: 2
; NumSGPRsForWavesPerEU: 16
; NumVGPRsForWavesPerEU: 9
; Occupancy: 10
; WaveLimiterHint : 0
; COMPUTE_PGM_RSRC2:SCRATCH_EN: 0
; COMPUTE_PGM_RSRC2:USER_SGPR: 6
; COMPUTE_PGM_RSRC2:TRAP_HANDLER: 0
; COMPUTE_PGM_RSRC2:TGID_X_EN: 1
; COMPUTE_PGM_RSRC2:TGID_Y_EN: 1
; COMPUTE_PGM_RSRC2:TGID_Z_EN: 0
; COMPUTE_PGM_RSRC2:TIDIG_COMP_CNT: 1
	.section	.AMDGPU.gpr_maximums,"",@progbits
	.set amdgpu.max_num_vgpr, 0
	.set amdgpu.max_num_agpr, 0
	.set amdgpu.max_num_sgpr, 0
	.section	.AMDGPU.csdata,"",@progbits
	.type	__hip_cuid_9a66f3682db43e05,@object ; @__hip_cuid_9a66f3682db43e05
	.section	.bss,"aw",@nobits
	.globl	__hip_cuid_9a66f3682db43e05
__hip_cuid_9a66f3682db43e05:
	.byte	0                               ; 0x0
	.size	__hip_cuid_9a66f3682db43e05, 1

	.ident	"AMD clang version 22.0.0git (https://github.com/RadeonOpenCompute/llvm-project roc-7.2.4 26084 f58b06dce1f9c15707c5f808fd002e18c2accf7e)"
	.section	".note.GNU-stack","",@progbits
	.addrsig
	.addrsig_sym __hip_cuid_9a66f3682db43e05
	.amdgpu_metadata
---
amdhsa.kernels:
  - .args:           []
    .group_segment_fixed_size: 0
    .kernarg_segment_align: 4
    .kernarg_segment_size: 0
    .language:       OpenCL C
    .language_version:
      - 2
      - 0
    .max_flat_workgroup_size: 1024
    .name:           _ZN2ckL12flush_icacheEv
    .private_segment_fixed_size: 0
    .sgpr_count:     4
    .sgpr_spill_count: 0
    .symbol:         _ZN2ckL12flush_icacheEv.kd
    .uniform_work_group_size: 1
    .uses_dynamic_stack: false
    .vgpr_count:     0
    .vgpr_spill_count: 0
    .wavefront_size: 64
  - .args:
      - .actual_access:  read_only
        .address_space:  global
        .offset:         0
        .size:           8
        .value_kind:     global_buffer
      - .actual_access:  read_only
        .address_space:  global
        .offset:         8
        .size:           8
        .value_kind:     global_buffer
      - .actual_access:  read_only
        .address_space:  global
        .offset:         16
        .size:           8
        .value_kind:     global_buffer
      - .offset:         24
        .size:           1
        .value_kind:     by_value
      - .offset:         25
        .size:           1
        .value_kind:     by_value
      - .offset:         26
        .size:           1
        .value_kind:     by_value
      - .offset:         32
        .size:           56
        .value_kind:     by_value
      - .offset:         88
        .size:           56
        .value_kind:     by_value
      - .offset:         144
        .size:           64
        .value_kind:     by_value
      - .offset:         208
        .size:           68
        .value_kind:     by_value
    .group_segment_fixed_size: 0
    .kernarg_segment_align: 8
    .kernarg_segment_size: 276
    .language:       OpenCL C
    .language_version:
      - 2
      - 0
    .max_flat_workgroup_size: 512
    .name:           _ZN2ck37kernel_gemm_xdl_waveletmodel_cshuffleINS_53GridwiseGemm_k0mk1_k0nk1_mn_xdl_waveletmodel_cshuffleIDF16_fDF16_DF16_NS_16tensor_operation12element_wise11PassThroughES4_S4_LNS_25InMemoryDataOperationEnumE0ENS_16TensorDescriptorINS_5TupleIJNS_5EmbedINS7_IJiiEEENS7_IJiNS_17integral_constantIiLi1EEEEEELb0EEENS_11PassThroughIiEESF_EEENS7_IJNS_8SequenceIJLi0EEEENSH_IJLi1EEEENSH_IJLi2EEEEEEENS7_IJNSH_IJLi1ELi2EEEENSH_IJLi3EEEENSH_IJLi4EEEEEEENSH_IJLi3ELi4EEEElEESR_SR_Li1ELi256ELi256ELi256ELi128ELi32ELi8ELi8ELi16ELi16ELi8ELi4ENSH_IJLi4ELi64ELi1EEEENSH_IJLi1ELi0ELi2EEEEST_Li2ELi8ELi8ELb0ELi1ESS_ST_ST_Li2ELi8ELi8ELb0ELi1ELi1ELi1ENSH_IJLi1ELi32ELi1ELi8EEEELi4EEEDF16_DF16_S4_S4_S4_NS6_INS7_IJSD_SF_SF_NS_7UnMergeINS7_IJiNSA_IiLi8EEEEEELb0EEESF_EEENS7_IJSI_SJ_SK_SO_SN_EEENS7_IJSM_SN_SO_NSH_IJLi5ELi6EEEENSH_IJLi7EEEEEEENSH_IJLi5ELi7ELi6EEEElEES16_NS6_INS7_IJSD_SF_SF_NSW_INS7_IJiNSA_IiLi256EEEEEELb0EEENSW_INS7_IJiNSA_IiLi128EEEEEELb0EEEEEENS7_IJSI_SJ_SK_SN_SO_EEENS7_IJSM_SN_SO_S12_NSH_IJLi7ELi8EEEEEEENSH_IJLi5ELi6ELi7ELi8EEEElEENS_13TensorAdaptorINS7_IJNSW_ISC_Lb0EEES1K_NS_23Merge_v2_magic_divisionINS7_IJiiSB_SB_EEEEEEEENS7_IJSI_SJ_NSH_IJLi2ELi3ELi4ELi5EEEEEEENS7_IJNSH_IJLi2ELi4EEEENSH_IJLi3ELi5EEEENSH_IJLi6EEEEEEENSH_IJLi0ELi1EEEES1T_EELb1EEEvPKT0_S1Z_PT1_T2_T3_T4_T5_T6_T7_T8_
    .private_segment_fixed_size: 0
    .sgpr_count:     4
    .sgpr_spill_count: 0
    .symbol:         _ZN2ck37kernel_gemm_xdl_waveletmodel_cshuffleINS_53GridwiseGemm_k0mk1_k0nk1_mn_xdl_waveletmodel_cshuffleIDF16_fDF16_DF16_NS_16tensor_operation12element_wise11PassThroughES4_S4_LNS_25InMemoryDataOperationEnumE0ENS_16TensorDescriptorINS_5TupleIJNS_5EmbedINS7_IJiiEEENS7_IJiNS_17integral_constantIiLi1EEEEEELb0EEENS_11PassThroughIiEESF_EEENS7_IJNS_8SequenceIJLi0EEEENSH_IJLi1EEEENSH_IJLi2EEEEEEENS7_IJNSH_IJLi1ELi2EEEENSH_IJLi3EEEENSH_IJLi4EEEEEEENSH_IJLi3ELi4EEEElEESR_SR_Li1ELi256ELi256ELi256ELi128ELi32ELi8ELi8ELi16ELi16ELi8ELi4ENSH_IJLi4ELi64ELi1EEEENSH_IJLi1ELi0ELi2EEEEST_Li2ELi8ELi8ELb0ELi1ESS_ST_ST_Li2ELi8ELi8ELb0ELi1ELi1ELi1ENSH_IJLi1ELi32ELi1ELi8EEEELi4EEEDF16_DF16_S4_S4_S4_NS6_INS7_IJSD_SF_SF_NS_7UnMergeINS7_IJiNSA_IiLi8EEEEEELb0EEESF_EEENS7_IJSI_SJ_SK_SO_SN_EEENS7_IJSM_SN_SO_NSH_IJLi5ELi6EEEENSH_IJLi7EEEEEEENSH_IJLi5ELi7ELi6EEEElEES16_NS6_INS7_IJSD_SF_SF_NSW_INS7_IJiNSA_IiLi256EEEEEELb0EEENSW_INS7_IJiNSA_IiLi128EEEEEELb0EEEEEENS7_IJSI_SJ_SK_SN_SO_EEENS7_IJSM_SN_SO_S12_NSH_IJLi7ELi8EEEEEEENSH_IJLi5ELi6ELi7ELi8EEEElEENS_13TensorAdaptorINS7_IJNSW_ISC_Lb0EEES1K_NS_23Merge_v2_magic_divisionINS7_IJiiSB_SB_EEEEEEEENS7_IJSI_SJ_NSH_IJLi2ELi3ELi4ELi5EEEEEEENS7_IJNSH_IJLi2ELi4EEEENSH_IJLi3ELi5EEEENSH_IJLi6EEEEEEENSH_IJLi0ELi1EEEES1T_EELb1EEEvPKT0_S1Z_PT1_T2_T3_T4_T5_T6_T7_T8_.kd
    .uniform_work_group_size: 1
    .uses_dynamic_stack: false
    .vgpr_count:     0
    .vgpr_spill_count: 0
    .wavefront_size: 64
  - .args:
      - .actual_access:  read_only
        .address_space:  global
        .offset:         0
        .size:           8
        .value_kind:     global_buffer
      - .actual_access:  read_only
        .address_space:  global
        .offset:         8
        .size:           8
        .value_kind:     global_buffer
      - .actual_access:  read_only
        .address_space:  global
        .offset:         16
        .size:           8
        .value_kind:     global_buffer
      - .offset:         24
        .size:           1
        .value_kind:     by_value
      - .offset:         25
        .size:           1
        .value_kind:     by_value
      - .offset:         26
        .size:           1
        .value_kind:     by_value
      - .offset:         32
        .size:           56
        .value_kind:     by_value
      - .offset:         88
        .size:           56
        .value_kind:     by_value
      - .offset:         144
        .size:           64
        .value_kind:     by_value
      - .offset:         208
        .size:           68
        .value_kind:     by_value
    .group_segment_fixed_size: 0
    .kernarg_segment_align: 8
    .kernarg_segment_size: 276
    .language:       OpenCL C
    .language_version:
      - 2
      - 0
    .max_flat_workgroup_size: 512
    .name:           _ZN2ck37kernel_gemm_xdl_waveletmodel_cshuffleINS_53GridwiseGemm_k0mk1_k0nk1_mn_xdl_waveletmodel_cshuffleIDF16_fDF16_DF16_NS_16tensor_operation12element_wise11PassThroughES4_S4_LNS_25InMemoryDataOperationEnumE0ENS_16TensorDescriptorINS_5TupleIJNS_5EmbedINS7_IJiiEEENS7_IJiNS_17integral_constantIiLi1EEEEEELb0EEENS_11PassThroughIiEESF_EEENS7_IJNS_8SequenceIJLi0EEEENSH_IJLi1EEEENSH_IJLi2EEEEEEENS7_IJNSH_IJLi1ELi2EEEENSH_IJLi3EEEENSH_IJLi4EEEEEEENSH_IJLi3ELi4EEEElEESR_SR_Li1ELi256ELi256ELi256ELi128ELi32ELi8ELi8ELi16ELi16ELi8ELi4ENSH_IJLi4ELi64ELi1EEEENSH_IJLi1ELi0ELi2EEEEST_Li2ELi8ELi8ELb0ELi1ESS_ST_ST_Li2ELi8ELi8ELb0ELi1ELi1ELi1ENSH_IJLi1ELi32ELi1ELi8EEEELi4EEEDF16_DF16_S4_S4_S4_NS6_INS7_IJSD_SF_SF_NS_7UnMergeINS7_IJiNSA_IiLi8EEEEEELb0EEESF_EEENS7_IJSI_SJ_SK_SO_SN_EEENS7_IJSM_SN_SO_NSH_IJLi5ELi6EEEENSH_IJLi7EEEEEEENSH_IJLi5ELi7ELi6EEEElEES16_NS6_INS7_IJSD_SF_SF_NSW_INS7_IJiNSA_IiLi256EEEEEELb0EEENSW_INS7_IJiNSA_IiLi128EEEEEELb0EEEEEENS7_IJSI_SJ_SK_SN_SO_EEENS7_IJSM_SN_SO_S12_NSH_IJLi7ELi8EEEEEEENSH_IJLi5ELi6ELi7ELi8EEEElEENS_13TensorAdaptorINS7_IJNSW_ISC_Lb0EEES1K_NS_23Merge_v2_magic_divisionINS7_IJiiSB_SB_EEEEEEEENS7_IJSI_SJ_NSH_IJLi2ELi3ELi4ELi5EEEEEEENS7_IJNSH_IJLi2ELi4EEEENSH_IJLi3ELi5EEEENSH_IJLi6EEEEEEENSH_IJLi0ELi1EEEES1T_EELb0EEEvPKT0_S1Z_PT1_T2_T3_T4_T5_T6_T7_T8_
    .private_segment_fixed_size: 0
    .sgpr_count:     4
    .sgpr_spill_count: 0
    .symbol:         _ZN2ck37kernel_gemm_xdl_waveletmodel_cshuffleINS_53GridwiseGemm_k0mk1_k0nk1_mn_xdl_waveletmodel_cshuffleIDF16_fDF16_DF16_NS_16tensor_operation12element_wise11PassThroughES4_S4_LNS_25InMemoryDataOperationEnumE0ENS_16TensorDescriptorINS_5TupleIJNS_5EmbedINS7_IJiiEEENS7_IJiNS_17integral_constantIiLi1EEEEEELb0EEENS_11PassThroughIiEESF_EEENS7_IJNS_8SequenceIJLi0EEEENSH_IJLi1EEEENSH_IJLi2EEEEEEENS7_IJNSH_IJLi1ELi2EEEENSH_IJLi3EEEENSH_IJLi4EEEEEEENSH_IJLi3ELi4EEEElEESR_SR_Li1ELi256ELi256ELi256ELi128ELi32ELi8ELi8ELi16ELi16ELi8ELi4ENSH_IJLi4ELi64ELi1EEEENSH_IJLi1ELi0ELi2EEEEST_Li2ELi8ELi8ELb0ELi1ESS_ST_ST_Li2ELi8ELi8ELb0ELi1ELi1ELi1ENSH_IJLi1ELi32ELi1ELi8EEEELi4EEEDF16_DF16_S4_S4_S4_NS6_INS7_IJSD_SF_SF_NS_7UnMergeINS7_IJiNSA_IiLi8EEEEEELb0EEESF_EEENS7_IJSI_SJ_SK_SO_SN_EEENS7_IJSM_SN_SO_NSH_IJLi5ELi6EEEENSH_IJLi7EEEEEEENSH_IJLi5ELi7ELi6EEEElEES16_NS6_INS7_IJSD_SF_SF_NSW_INS7_IJiNSA_IiLi256EEEEEELb0EEENSW_INS7_IJiNSA_IiLi128EEEEEELb0EEEEEENS7_IJSI_SJ_SK_SN_SO_EEENS7_IJSM_SN_SO_S12_NSH_IJLi7ELi8EEEEEEENSH_IJLi5ELi6ELi7ELi8EEEElEENS_13TensorAdaptorINS7_IJNSW_ISC_Lb0EEES1K_NS_23Merge_v2_magic_divisionINS7_IJiiSB_SB_EEEEEEEENS7_IJSI_SJ_NSH_IJLi2ELi3ELi4ELi5EEEEEEENS7_IJNSH_IJLi2ELi4EEEENSH_IJLi3ELi5EEEENSH_IJLi6EEEEEEENSH_IJLi0ELi1EEEES1T_EELb0EEEvPKT0_S1Z_PT1_T2_T3_T4_T5_T6_T7_T8_.kd
    .uniform_work_group_size: 1
    .uses_dynamic_stack: false
    .vgpr_count:     0
    .vgpr_spill_count: 0
    .wavefront_size: 64
  - .args:
      - .actual_access:  read_only
        .address_space:  global
        .offset:         0
        .size:           8
        .value_kind:     global_buffer
      - .actual_access:  read_only
        .address_space:  global
        .offset:         8
        .size:           8
        .value_kind:     global_buffer
      - .actual_access:  read_only
        .address_space:  global
        .offset:         16
        .size:           8
        .value_kind:     global_buffer
      - .offset:         24
        .size:           1
        .value_kind:     by_value
      - .offset:         25
        .size:           1
        .value_kind:     by_value
      - .offset:         26
        .size:           1
        .value_kind:     by_value
      - .offset:         32
        .size:           56
        .value_kind:     by_value
      - .offset:         88
        .size:           56
        .value_kind:     by_value
      - .offset:         144
        .size:           64
        .value_kind:     by_value
      - .offset:         208
        .size:           68
        .value_kind:     by_value
    .group_segment_fixed_size: 0
    .kernarg_segment_align: 8
    .kernarg_segment_size: 276
    .language:       OpenCL C
    .language_version:
      - 2
      - 0
    .max_flat_workgroup_size: 512
    .name:           _ZN2ck37kernel_gemm_xdl_waveletmodel_cshuffleINS_53GridwiseGemm_k0mk1_k0nk1_mn_xdl_waveletmodel_cshuffleIDF16_fDF16_DF16_NS_16tensor_operation12element_wise11PassThroughES4_S4_LNS_25InMemoryDataOperationEnumE0ENS_16TensorDescriptorINS_5TupleIJNS_5EmbedINS7_IJiiEEENS7_IJiNS_17integral_constantIiLi1EEEEEELb0EEENS_11PassThroughIiEESF_EEENS7_IJNS_8SequenceIJLi0EEEENSH_IJLi1EEEENSH_IJLi2EEEEEEENS7_IJNSH_IJLi1ELi2EEEENSH_IJLi3EEEENSH_IJLi4EEEEEEENSH_IJLi3ELi4EEEElEESR_SR_Li1ELi256ELi256ELi256ELi128ELi32ELi8ELi8ELi16ELi16ELi8ELi2ENSH_IJLi4ELi64ELi1EEEENSH_IJLi1ELi0ELi2EEEEST_Li2ELi8ELi8ELb0ELi1ESS_ST_ST_Li2ELi8ELi8ELb0ELi1ELi1ELi1ENSH_IJLi1ELi32ELi1ELi8EEEELi4EEEDF16_DF16_S4_S4_S4_NS6_INS7_IJSD_SF_SF_NS_7UnMergeINS7_IJiNSA_IiLi8EEEEEELb0EEESF_EEENS7_IJSI_SJ_SK_SO_SN_EEENS7_IJSM_SN_SO_NSH_IJLi5ELi6EEEENSH_IJLi7EEEEEEENSH_IJLi5ELi7ELi6EEEElEES16_NS6_INS7_IJSD_SF_SF_NSW_INS7_IJiNSA_IiLi256EEEEEELb0EEENSW_INS7_IJiNSA_IiLi128EEEEEELb0EEEEEENS7_IJSI_SJ_SK_SN_SO_EEENS7_IJSM_SN_SO_S12_NSH_IJLi7ELi8EEEEEEENSH_IJLi5ELi6ELi7ELi8EEEElEENS_13TensorAdaptorINS7_IJNSW_ISC_Lb0EEES1K_NS_23Merge_v2_magic_divisionINS7_IJiiSB_SB_EEEEEEEENS7_IJSI_SJ_NSH_IJLi2ELi3ELi4ELi5EEEEEEENS7_IJNSH_IJLi2ELi4EEEENSH_IJLi3ELi5EEEENSH_IJLi6EEEEEEENSH_IJLi0ELi1EEEES1T_EELb1EEEvPKT0_S1Z_PT1_T2_T3_T4_T5_T6_T7_T8_
    .private_segment_fixed_size: 0
    .sgpr_count:     4
    .sgpr_spill_count: 0
    .symbol:         _ZN2ck37kernel_gemm_xdl_waveletmodel_cshuffleINS_53GridwiseGemm_k0mk1_k0nk1_mn_xdl_waveletmodel_cshuffleIDF16_fDF16_DF16_NS_16tensor_operation12element_wise11PassThroughES4_S4_LNS_25InMemoryDataOperationEnumE0ENS_16TensorDescriptorINS_5TupleIJNS_5EmbedINS7_IJiiEEENS7_IJiNS_17integral_constantIiLi1EEEEEELb0EEENS_11PassThroughIiEESF_EEENS7_IJNS_8SequenceIJLi0EEEENSH_IJLi1EEEENSH_IJLi2EEEEEEENS7_IJNSH_IJLi1ELi2EEEENSH_IJLi3EEEENSH_IJLi4EEEEEEENSH_IJLi3ELi4EEEElEESR_SR_Li1ELi256ELi256ELi256ELi128ELi32ELi8ELi8ELi16ELi16ELi8ELi2ENSH_IJLi4ELi64ELi1EEEENSH_IJLi1ELi0ELi2EEEEST_Li2ELi8ELi8ELb0ELi1ESS_ST_ST_Li2ELi8ELi8ELb0ELi1ELi1ELi1ENSH_IJLi1ELi32ELi1ELi8EEEELi4EEEDF16_DF16_S4_S4_S4_NS6_INS7_IJSD_SF_SF_NS_7UnMergeINS7_IJiNSA_IiLi8EEEEEELb0EEESF_EEENS7_IJSI_SJ_SK_SO_SN_EEENS7_IJSM_SN_SO_NSH_IJLi5ELi6EEEENSH_IJLi7EEEEEEENSH_IJLi5ELi7ELi6EEEElEES16_NS6_INS7_IJSD_SF_SF_NSW_INS7_IJiNSA_IiLi256EEEEEELb0EEENSW_INS7_IJiNSA_IiLi128EEEEEELb0EEEEEENS7_IJSI_SJ_SK_SN_SO_EEENS7_IJSM_SN_SO_S12_NSH_IJLi7ELi8EEEEEEENSH_IJLi5ELi6ELi7ELi8EEEElEENS_13TensorAdaptorINS7_IJNSW_ISC_Lb0EEES1K_NS_23Merge_v2_magic_divisionINS7_IJiiSB_SB_EEEEEEEENS7_IJSI_SJ_NSH_IJLi2ELi3ELi4ELi5EEEEEEENS7_IJNSH_IJLi2ELi4EEEENSH_IJLi3ELi5EEEENSH_IJLi6EEEEEEENSH_IJLi0ELi1EEEES1T_EELb1EEEvPKT0_S1Z_PT1_T2_T3_T4_T5_T6_T7_T8_.kd
    .uniform_work_group_size: 1
    .uses_dynamic_stack: false
    .vgpr_count:     0
    .vgpr_spill_count: 0
    .wavefront_size: 64
  - .args:
      - .actual_access:  read_only
        .address_space:  global
        .offset:         0
        .size:           8
        .value_kind:     global_buffer
      - .actual_access:  read_only
        .address_space:  global
        .offset:         8
        .size:           8
        .value_kind:     global_buffer
      - .actual_access:  read_only
        .address_space:  global
        .offset:         16
        .size:           8
        .value_kind:     global_buffer
      - .offset:         24
        .size:           1
        .value_kind:     by_value
      - .offset:         25
        .size:           1
        .value_kind:     by_value
      - .offset:         26
        .size:           1
        .value_kind:     by_value
      - .offset:         32
        .size:           56
        .value_kind:     by_value
      - .offset:         88
        .size:           56
        .value_kind:     by_value
      - .offset:         144
        .size:           64
        .value_kind:     by_value
      - .offset:         208
        .size:           68
        .value_kind:     by_value
    .group_segment_fixed_size: 0
    .kernarg_segment_align: 8
    .kernarg_segment_size: 276
    .language:       OpenCL C
    .language_version:
      - 2
      - 0
    .max_flat_workgroup_size: 512
    .name:           _ZN2ck37kernel_gemm_xdl_waveletmodel_cshuffleINS_53GridwiseGemm_k0mk1_k0nk1_mn_xdl_waveletmodel_cshuffleIDF16_fDF16_DF16_NS_16tensor_operation12element_wise11PassThroughES4_S4_LNS_25InMemoryDataOperationEnumE0ENS_16TensorDescriptorINS_5TupleIJNS_5EmbedINS7_IJiiEEENS7_IJiNS_17integral_constantIiLi1EEEEEELb0EEENS_11PassThroughIiEESF_EEENS7_IJNS_8SequenceIJLi0EEEENSH_IJLi1EEEENSH_IJLi2EEEEEEENS7_IJNSH_IJLi1ELi2EEEENSH_IJLi3EEEENSH_IJLi4EEEEEEENSH_IJLi3ELi4EEEElEESR_SR_Li1ELi256ELi256ELi256ELi128ELi32ELi8ELi8ELi16ELi16ELi8ELi2ENSH_IJLi4ELi64ELi1EEEENSH_IJLi1ELi0ELi2EEEEST_Li2ELi8ELi8ELb0ELi1ESS_ST_ST_Li2ELi8ELi8ELb0ELi1ELi1ELi1ENSH_IJLi1ELi32ELi1ELi8EEEELi4EEEDF16_DF16_S4_S4_S4_NS6_INS7_IJSD_SF_SF_NS_7UnMergeINS7_IJiNSA_IiLi8EEEEEELb0EEESF_EEENS7_IJSI_SJ_SK_SO_SN_EEENS7_IJSM_SN_SO_NSH_IJLi5ELi6EEEENSH_IJLi7EEEEEEENSH_IJLi5ELi7ELi6EEEElEES16_NS6_INS7_IJSD_SF_SF_NSW_INS7_IJiNSA_IiLi256EEEEEELb0EEENSW_INS7_IJiNSA_IiLi128EEEEEELb0EEEEEENS7_IJSI_SJ_SK_SN_SO_EEENS7_IJSM_SN_SO_S12_NSH_IJLi7ELi8EEEEEEENSH_IJLi5ELi6ELi7ELi8EEEElEENS_13TensorAdaptorINS7_IJNSW_ISC_Lb0EEES1K_NS_23Merge_v2_magic_divisionINS7_IJiiSB_SB_EEEEEEEENS7_IJSI_SJ_NSH_IJLi2ELi3ELi4ELi5EEEEEEENS7_IJNSH_IJLi2ELi4EEEENSH_IJLi3ELi5EEEENSH_IJLi6EEEEEEENSH_IJLi0ELi1EEEES1T_EELb0EEEvPKT0_S1Z_PT1_T2_T3_T4_T5_T6_T7_T8_
    .private_segment_fixed_size: 0
    .sgpr_count:     4
    .sgpr_spill_count: 0
    .symbol:         _ZN2ck37kernel_gemm_xdl_waveletmodel_cshuffleINS_53GridwiseGemm_k0mk1_k0nk1_mn_xdl_waveletmodel_cshuffleIDF16_fDF16_DF16_NS_16tensor_operation12element_wise11PassThroughES4_S4_LNS_25InMemoryDataOperationEnumE0ENS_16TensorDescriptorINS_5TupleIJNS_5EmbedINS7_IJiiEEENS7_IJiNS_17integral_constantIiLi1EEEEEELb0EEENS_11PassThroughIiEESF_EEENS7_IJNS_8SequenceIJLi0EEEENSH_IJLi1EEEENSH_IJLi2EEEEEEENS7_IJNSH_IJLi1ELi2EEEENSH_IJLi3EEEENSH_IJLi4EEEEEEENSH_IJLi3ELi4EEEElEESR_SR_Li1ELi256ELi256ELi256ELi128ELi32ELi8ELi8ELi16ELi16ELi8ELi2ENSH_IJLi4ELi64ELi1EEEENSH_IJLi1ELi0ELi2EEEEST_Li2ELi8ELi8ELb0ELi1ESS_ST_ST_Li2ELi8ELi8ELb0ELi1ELi1ELi1ENSH_IJLi1ELi32ELi1ELi8EEEELi4EEEDF16_DF16_S4_S4_S4_NS6_INS7_IJSD_SF_SF_NS_7UnMergeINS7_IJiNSA_IiLi8EEEEEELb0EEESF_EEENS7_IJSI_SJ_SK_SO_SN_EEENS7_IJSM_SN_SO_NSH_IJLi5ELi6EEEENSH_IJLi7EEEEEEENSH_IJLi5ELi7ELi6EEEElEES16_NS6_INS7_IJSD_SF_SF_NSW_INS7_IJiNSA_IiLi256EEEEEELb0EEENSW_INS7_IJiNSA_IiLi128EEEEEELb0EEEEEENS7_IJSI_SJ_SK_SN_SO_EEENS7_IJSM_SN_SO_S12_NSH_IJLi7ELi8EEEEEEENSH_IJLi5ELi6ELi7ELi8EEEElEENS_13TensorAdaptorINS7_IJNSW_ISC_Lb0EEES1K_NS_23Merge_v2_magic_divisionINS7_IJiiSB_SB_EEEEEEEENS7_IJSI_SJ_NSH_IJLi2ELi3ELi4ELi5EEEEEEENS7_IJNSH_IJLi2ELi4EEEENSH_IJLi3ELi5EEEENSH_IJLi6EEEEEEENSH_IJLi0ELi1EEEES1T_EELb0EEEvPKT0_S1Z_PT1_T2_T3_T4_T5_T6_T7_T8_.kd
    .uniform_work_group_size: 1
    .uses_dynamic_stack: false
    .vgpr_count:     0
    .vgpr_spill_count: 0
    .wavefront_size: 64
  - .args:
      - .actual_access:  read_only
        .address_space:  global
        .offset:         0
        .size:           8
        .value_kind:     global_buffer
      - .actual_access:  read_only
        .address_space:  global
        .offset:         8
        .size:           8
        .value_kind:     global_buffer
      - .actual_access:  write_only
        .address_space:  global
        .offset:         16
        .size:           8
        .value_kind:     global_buffer
      - .offset:         24
        .size:           4
        .value_kind:     by_value
      - .offset:         28
        .size:           4
        .value_kind:     by_value
      - .offset:         32
        .size:           4
        .value_kind:     by_value
      - .offset:         36
        .size:           1
        .value_kind:     by_value
      - .offset:         37
        .size:           1
        .value_kind:     by_value
      - .offset:         38
        .size:           1
        .value_kind:     by_value
      - .offset:         40
        .size:           4
        .value_kind:     hidden_block_count_x
      - .offset:         44
        .size:           4
        .value_kind:     hidden_block_count_y
      - .offset:         48
        .size:           4
        .value_kind:     hidden_block_count_z
      - .offset:         52
        .size:           2
        .value_kind:     hidden_group_size_x
      - .offset:         54
        .size:           2
        .value_kind:     hidden_group_size_y
      - .offset:         56
        .size:           2
        .value_kind:     hidden_group_size_z
      - .offset:         58
        .size:           2
        .value_kind:     hidden_remainder_x
      - .offset:         60
        .size:           2
        .value_kind:     hidden_remainder_y
      - .offset:         62
        .size:           2
        .value_kind:     hidden_remainder_z
      - .offset:         80
        .size:           8
        .value_kind:     hidden_global_offset_x
      - .offset:         88
        .size:           8
        .value_kind:     hidden_global_offset_y
      - .offset:         96
        .size:           8
        .value_kind:     hidden_global_offset_z
      - .offset:         104
        .size:           2
        .value_kind:     hidden_grid_dims
    .group_segment_fixed_size: 0
    .kernarg_segment_align: 8
    .kernarg_segment_size: 296
    .language:       OpenCL C
    .language_version:
      - 2
      - 0
    .max_flat_workgroup_size: 256
    .name:           _ZN2ck17naive_gemm_kernelINS_13tensor_layout4gemm8RowMajorENS2_11ColumnMajorES3_DF16_DF16_DF16_fNS_16tensor_operation12element_wise11PassThroughES7_S7_DF16_DF16_EEvPKT2_PKT3_PT4_iiiT6_T7_T8_
    .private_segment_fixed_size: 0
    .sgpr_count:     16
    .sgpr_spill_count: 0
    .symbol:         _ZN2ck17naive_gemm_kernelINS_13tensor_layout4gemm8RowMajorENS2_11ColumnMajorES3_DF16_DF16_DF16_fNS_16tensor_operation12element_wise11PassThroughES7_S7_DF16_DF16_EEvPKT2_PKT3_PT4_iiiT6_T7_T8_.kd
    .uniform_work_group_size: 1
    .uses_dynamic_stack: false
    .vgpr_count:     9
    .vgpr_spill_count: 0
    .wavefront_size: 64
amdhsa.target:   amdgcn-amd-amdhsa--gfx906
amdhsa.version:
  - 1
  - 2
...

	.end_amdgpu_metadata
